;; amdgpu-corpus repo=ROCm/rocFFT kind=compiled arch=gfx950 opt=O3
	.text
	.amdgcn_target "amdgcn-amd-amdhsa--gfx950"
	.amdhsa_code_object_version 6
	.protected	bluestein_single_back_len165_dim1_sp_op_CI_CI ; -- Begin function bluestein_single_back_len165_dim1_sp_op_CI_CI
	.globl	bluestein_single_back_len165_dim1_sp_op_CI_CI
	.p2align	8
	.type	bluestein_single_back_len165_dim1_sp_op_CI_CI,@function
bluestein_single_back_len165_dim1_sp_op_CI_CI: ; @bluestein_single_back_len165_dim1_sp_op_CI_CI
; %bb.0:
	s_load_dwordx4 s[12:15], s[0:1], 0x28
	v_mul_u32_u24_e32 v1, 0x1746, v0
	v_lshrrev_b32_e32 v2, 16, v1
	v_mad_u64_u32 v[92:93], s[2:3], s2, 5, v[2:3]
	v_mov_b32_e32 v77, 0
	v_mov_b32_e32 v93, v77
	s_waitcnt lgkmcnt(0)
	v_cmp_gt_u64_e32 vcc, s[12:13], v[92:93]
	s_and_saveexec_b64 s[2:3], vcc
	s_cbranch_execz .LBB0_15
; %bb.1:
	s_load_dwordx4 s[4:7], s[0:1], 0x18
	s_load_dwordx2 s[12:13], s[0:1], 0x0
	v_mul_lo_u16_e32 v1, 11, v2
	v_sub_u16_e32 v76, v0, v1
	v_mov_b32_e32 v4, s14
	s_waitcnt lgkmcnt(0)
	s_load_dwordx4 s[8:11], s[4:5], 0x0
	v_mov_b32_e32 v5, s15
	s_mov_b32 s4, 0xcccccccd
	v_mul_hi_u32 v28, v92, s4
	v_lshrrev_b32_e32 v28, 2, v28
	s_waitcnt lgkmcnt(0)
	v_mad_u64_u32 v[0:1], s[2:3], s10, v92, 0
	v_mov_b32_e32 v2, v1
	v_mad_u64_u32 v[2:3], s[2:3], s11, v92, v[2:3]
	v_mov_b32_e32 v1, v2
	;; [unrolled: 2-line block ×3, first 2 shown]
	v_mad_u64_u32 v[6:7], s[2:3], s9, v76, v[6:7]
	s_mul_i32 s2, s9, 15
	s_mul_hi_u32 s3, s8, 15
	v_mov_b32_e32 v3, v6
	v_lshl_add_u64 v[0:1], v[0:1], 3, v[4:5]
	s_add_i32 s3, s3, s2
	s_mul_i32 s2, s8, 15
	v_lshl_add_u64 v[2:3], v[2:3], 3, v[0:1]
	v_lshlrev_b32_e32 v4, 3, v76
	s_lshl_b64 s[10:11], s[2:3], 3
	global_load_dwordx2 v[102:103], v4, s[12:13]
	global_load_dwordx2 v[6:7], v[2:3], off
	v_lshl_add_u64 v[2:3], v[2:3], 0, s[10:11]
	global_load_dwordx2 v[8:9], v[2:3], off
	global_load_dwordx2 v[100:101], v4, s[12:13] offset:120
	v_lshl_add_u64 v[2:3], v[2:3], 0, s[10:11]
	global_load_dwordx2 v[98:99], v4, s[12:13] offset:240
	global_load_dwordx2 v[10:11], v[2:3], off
	v_lshl_add_u64 v[2:3], v[2:3], 0, s[10:11]
	global_load_dwordx2 v[12:13], v[2:3], off
	global_load_dwordx2 v[96:97], v4, s[12:13] offset:360
	v_lshl_add_u64 v[2:3], v[2:3], 0, s[10:11]
	global_load_dwordx2 v[14:15], v[2:3], off
	global_load_dwordx2 v[94:95], v4, s[12:13] offset:480
	;; [unrolled: 3-line block ×4, first 2 shown]
	v_lshl_add_u64 v[2:3], v[2:3], 0, s[10:11]
	global_load_dwordx2 v[86:87], v4, s[12:13] offset:840
	global_load_dwordx2 v[20:21], v[2:3], off
	v_lshl_add_u64 v[2:3], v[2:3], 0, s[10:11]
	global_load_dwordx2 v[22:23], v[2:3], off
	global_load_dwordx2 v[84:85], v4, s[12:13] offset:960
	v_lshl_add_u64 v[2:3], v[2:3], 0, s[10:11]
	global_load_dwordx2 v[24:25], v[2:3], off
	global_load_dwordx2 v[82:83], v4, s[12:13] offset:1080
	global_load_dwordx2 v[80:81], v4, s[12:13] offset:1200
	v_lshl_add_u64 v[2:3], v[2:3], 0, s[10:11]
	global_load_dwordx2 v[26:27], v[2:3], off
	v_lshl_add_u32 v28, v28, 2, v28
	v_sub_u32_e32 v28, v92, v28
	v_mul_u32_u24_e32 v28, 0xa5, v28
	v_mov_b32_e32 v5, v77
	v_lshlrev_b32_e32 v159, 3, v28
	v_lshl_add_u64 v[78:79], s[12:13], 0, v[4:5]
	v_add_u32_e32 v93, v4, v159
	s_load_dwordx2 s[2:3], s[0:1], 0x38
	v_cmp_gt_u16_e32 vcc, 4, v76
	s_load_dwordx4 s[4:7], s[6:7], 0x0
	v_or_b32_e32 v158, 56, v76
	s_waitcnt vmcnt(20)
	v_mul_f32_e32 v4, v7, v103
	v_mul_f32_e32 v5, v6, v103
	v_fmac_f32_e32 v4, v6, v102
	v_fma_f32 v5, v7, v102, -v5
	s_waitcnt vmcnt(18)
	v_mul_f32_e32 v6, v9, v101
	v_mul_f32_e32 v7, v8, v101
	v_fmac_f32_e32 v6, v8, v100
	v_fma_f32 v7, v9, v100, -v7
	s_waitcnt vmcnt(16)
	v_mul_f32_e32 v8, v11, v99
	v_mul_f32_e32 v9, v10, v99
	ds_write2_b64 v93, v[4:5], v[6:7] offset1:15
	s_waitcnt vmcnt(14)
	v_mul_f32_e32 v4, v13, v97
	v_mul_f32_e32 v5, v12, v97
	v_fmac_f32_e32 v8, v10, v98
	v_fma_f32 v9, v11, v98, -v9
	v_fmac_f32_e32 v4, v12, v96
	v_fma_f32 v5, v13, v96, -v5
	s_waitcnt vmcnt(12)
	v_mul_f32_e32 v6, v15, v95
	v_mul_f32_e32 v7, v14, v95
	ds_write2_b64 v93, v[8:9], v[4:5] offset0:30 offset1:45
	s_waitcnt vmcnt(10)
	v_mul_f32_e32 v4, v17, v91
	v_mul_f32_e32 v5, v16, v91
	v_fmac_f32_e32 v6, v14, v94
	v_fma_f32 v7, v15, v94, -v7
	v_fmac_f32_e32 v4, v16, v90
	v_fma_f32 v5, v17, v90, -v5
	s_waitcnt vmcnt(8)
	v_mul_f32_e32 v8, v19, v89
	v_mul_f32_e32 v9, v18, v89
	ds_write2_b64 v93, v[6:7], v[4:5] offset0:60 offset1:75
	s_waitcnt vmcnt(6)
	v_mul_f32_e32 v4, v21, v87
	v_mul_f32_e32 v5, v20, v87
	v_fmac_f32_e32 v8, v18, v88
	v_fma_f32 v9, v19, v88, -v9
	v_fmac_f32_e32 v4, v20, v86
	v_fma_f32 v5, v21, v86, -v5
	ds_write2_b64 v93, v[8:9], v[4:5] offset0:90 offset1:105
	s_waitcnt vmcnt(4)
	v_mul_f32_e32 v4, v23, v85
	v_mul_f32_e32 v5, v22, v85
	s_waitcnt vmcnt(2)
	v_mul_f32_e32 v6, v25, v83
	v_mul_f32_e32 v7, v24, v83
	v_fmac_f32_e32 v4, v22, v84
	v_fma_f32 v5, v23, v84, -v5
	v_fmac_f32_e32 v6, v24, v82
	v_fma_f32 v7, v25, v82, -v7
	ds_write2_b64 v93, v[4:5], v[6:7] offset0:120 offset1:135
	s_waitcnt vmcnt(0)
	v_mul_f32_e32 v4, v27, v81
	v_mul_f32_e32 v5, v26, v81
	v_fmac_f32_e32 v4, v26, v80
	v_fma_f32 v5, v27, v80, -v5
	ds_write_b64 v93, v[4:5] offset:1200
	s_and_saveexec_b64 s[14:15], vcc
	s_cbranch_execz .LBB0_3
; %bb.2:
	v_mov_b32_e32 v4, 0xfffffba8
	v_mad_u64_u32 v[2:3], s[16:17], s8, v4, v[2:3]
	s_mul_i32 s16, s9, 0xfffffba8
	s_sub_i32 s16, s16, s8
	v_add_u32_e32 v3, s16, v3
	v_mad_u64_u32 v[10:11], s[16:17], s8, v158, 0
	v_mov_b32_e32 v12, v11
	v_mad_u64_u32 v[12:13], s[16:17], s9, v158, v[12:13]
	global_load_dwordx2 v[4:5], v[2:3], off
	v_lshl_add_u64 v[2:3], v[2:3], 0, s[10:11]
	v_mov_b32_e32 v11, v12
	global_load_dwordx2 v[6:7], v[2:3], off
	v_lshl_add_u64 v[2:3], v[2:3], 0, s[10:11]
	v_lshl_add_u64 v[10:11], v[10:11], 3, v[0:1]
	v_or_b32_e32 v23, 0x74, v76
	global_load_dwordx2 v[8:9], v[2:3], off
	global_load_dwordx2 v[12:13], v[10:11], off
	global_load_dwordx2 v[14:15], v[78:79], off offset:88
	global_load_dwordx2 v[16:17], v[78:79], off offset:208
	;; [unrolled: 1-line block ×4, first 2 shown]
	v_mad_u64_u32 v[10:11], s[16:17], s8, v23, 0
	v_mov_b32_e32 v22, v11
	v_mov_b32_e32 v34, 0xf0
	v_mad_u64_u32 v[22:23], s[16:17], s9, v23, v[22:23]
	v_mad_u64_u32 v[2:3], s[16:17], s8, v34, v[2:3]
	s_mul_i32 s18, s9, 0xf0
	v_mov_b32_e32 v11, v22
	v_lshl_add_u64 v[0:1], v[10:11], 3, v[0:1]
	v_add_u32_e32 v3, s18, v3
	global_load_dwordx2 v[10:11], v[0:1], off
	global_load_dwordx2 v[22:23], v[78:79], off offset:928
	s_nop 0
	global_load_dwordx2 v[0:1], v[2:3], off
	global_load_dwordx2 v[24:25], v[78:79], off offset:568
	v_lshl_add_u64 v[2:3], v[2:3], 0, s[10:11]
	global_load_dwordx2 v[26:27], v[2:3], off
	global_load_dwordx2 v[28:29], v[78:79], off offset:688
	global_load_dwordx2 v[30:31], v[78:79], off offset:808
	v_lshl_add_u64 v[2:3], v[2:3], 0, s[10:11]
	global_load_dwordx2 v[32:33], v[2:3], off
	v_mad_u64_u32 v[2:3], s[8:9], s8, v34, v[2:3]
	v_add_u32_e32 v3, s18, v3
	global_load_dwordx2 v[34:35], v[2:3], off
	global_load_dwordx2 v[36:37], v[78:79], off offset:1048
	v_lshl_add_u64 v[2:3], v[2:3], 0, s[10:11]
	global_load_dwordx2 v[38:39], v[2:3], off
	global_load_dwordx2 v[40:41], v[78:79], off offset:1168
	v_lshl_add_u64 v[2:3], v[2:3], 0, s[10:11]
	global_load_dwordx2 v[42:43], v[78:79], off offset:1288
	global_load_dwordx2 v[44:45], v[2:3], off
	s_waitcnt vmcnt(17)
	v_mul_f32_e32 v2, v5, v15
	v_mul_f32_e32 v3, v4, v15
	v_fmac_f32_e32 v2, v4, v14
	v_fma_f32 v3, v5, v14, -v3
	s_waitcnt vmcnt(16)
	v_mul_f32_e32 v4, v7, v17
	v_mul_f32_e32 v5, v6, v17
	v_fmac_f32_e32 v4, v6, v16
	v_fma_f32 v5, v7, v16, -v5
	s_waitcnt vmcnt(15)
	v_mul_f32_e32 v6, v9, v19
	v_mul_f32_e32 v7, v8, v19
	s_waitcnt vmcnt(14)
	v_mul_f32_e32 v14, v13, v21
	v_mul_f32_e32 v15, v12, v21
	ds_write2_b64 v93, v[2:3], v[4:5] offset0:11 offset1:26
	v_fmac_f32_e32 v6, v8, v18
	v_fma_f32 v7, v9, v18, -v7
	v_fmac_f32_e32 v14, v12, v20
	v_fma_f32 v15, v13, v20, -v15
	s_waitcnt vmcnt(10)
	v_mul_f32_e32 v4, v1, v25
	v_mul_f32_e32 v5, v0, v25
	v_mul_f32_e32 v2, v11, v23
	v_mul_f32_e32 v3, v10, v23
	ds_write2_b64 v93, v[6:7], v[14:15] offset0:41 offset1:56
	v_fmac_f32_e32 v4, v0, v24
	v_fma_f32 v5, v1, v24, -v5
	s_waitcnt vmcnt(8)
	v_mul_f32_e32 v0, v27, v29
	v_mul_f32_e32 v1, v26, v29
	s_waitcnt vmcnt(6)
	v_mul_f32_e32 v6, v33, v31
	v_mul_f32_e32 v7, v32, v31
	v_fmac_f32_e32 v2, v10, v22
	v_fmac_f32_e32 v0, v26, v28
	v_fma_f32 v1, v27, v28, -v1
	v_fmac_f32_e32 v6, v32, v30
	v_fma_f32 v7, v33, v30, -v7
	v_fma_f32 v3, v11, v22, -v3
	ds_write2_b64 v93, v[4:5], v[0:1] offset0:71 offset1:86
	ds_write2_b64 v93, v[6:7], v[2:3] offset0:101 offset1:116
	s_waitcnt vmcnt(4)
	v_mul_f32_e32 v0, v35, v37
	v_mul_f32_e32 v1, v34, v37
	s_waitcnt vmcnt(2)
	v_mul_f32_e32 v2, v39, v41
	v_mul_f32_e32 v3, v38, v41
	v_fmac_f32_e32 v0, v34, v36
	v_fma_f32 v1, v35, v36, -v1
	v_fmac_f32_e32 v2, v38, v40
	v_fma_f32 v3, v39, v40, -v3
	ds_write2_b64 v93, v[0:1], v[2:3] offset0:131 offset1:146
	s_waitcnt vmcnt(0)
	v_mul_f32_e32 v0, v45, v43
	v_mul_f32_e32 v1, v44, v43
	v_fmac_f32_e32 v0, v44, v42
	v_fma_f32 v1, v45, v42, -v1
	ds_write_b64 v93, v[0:1] offset:1288
.LBB0_3:
	s_or_b64 exec, exec, s[14:15]
	s_waitcnt lgkmcnt(0)
	; wave barrier
	s_waitcnt lgkmcnt(0)
	ds_read2_b64 v[32:35], v93 offset1:15
	ds_read2_b64 v[36:39], v93 offset0:30 offset1:45
	ds_read2_b64 v[48:51], v93 offset0:60 offset1:75
	;; [unrolled: 1-line block ×4, first 2 shown]
	ds_read_b64 v[104:105], v93 offset:1200
	s_load_dwordx2 s[0:1], s[0:1], 0x8
	v_mov_b64_e32 v[12:13], 0
                                        ; implicit-def: $vgpr16
                                        ; implicit-def: $vgpr22
                                        ; implicit-def: $vgpr28
                                        ; implicit-def: $vgpr26
                                        ; implicit-def: $vgpr52
	s_and_saveexec_b64 s[8:9], vcc
	s_cbranch_execz .LBB0_5
; %bb.4:
	ds_read2_b64 v[12:15], v93 offset0:11 offset1:26
	ds_read2_b64 v[24:27], v93 offset0:41 offset1:56
	;; [unrolled: 1-line block ×5, first 2 shown]
	ds_read_b64 v[52:53], v93 offset:1288
.LBB0_5:
	s_or_b64 exec, exec, s[8:9]
	s_waitcnt lgkmcnt(0)
	v_pk_add_f32 v[128:129], v[14:15], v[52:53] neg_lo:[0,1] neg_hi:[0,1]
	s_mov_b32 s8, 0xbf68dda4
	v_pk_add_f32 v[126:127], v[52:53], v[14:15]
	v_pk_add_f32 v[130:131], v[24:25], v[30:31] neg_lo:[0,1] neg_hi:[0,1]
	s_mov_b32 s20, 0x3ed4b147
	v_pk_mul_f32 v[0:1], v[128:129], s[8:9] op_sel:[1,0] op_sel_hi:[0,0]
	s_mov_b32 s14, 0xbf4178ce
	v_pk_add_f32 v[124:125], v[30:31], v[24:25]
	v_pk_fma_f32 v[58:59], v[126:127], s[20:21], v[0:1] op_sel_hi:[1,0,1]
	v_pk_fma_f32 v[60:61], v[126:127], s[20:21], v[0:1] op_sel_hi:[1,0,1] neg_lo:[0,0,1] neg_hi:[0,0,1]
	s_mov_b32 s34, 0xbf27a4f4
	v_pk_mul_f32 v[4:5], v[130:131], s[14:15] op_sel:[1,0] op_sel_hi:[0,0]
	v_mov_b32_e32 v0, v58
	v_mov_b32_e32 v1, v61
	s_mov_b32 s10, 0xbf7d64f0
	v_pk_fma_f32 v[66:67], v[124:125], s[34:35], v[4:5] op_sel_hi:[1,0,1]
	v_pk_fma_f32 v[68:69], v[124:125], s[34:35], v[4:5] op_sel_hi:[1,0,1] neg_lo:[0,0,1] neg_hi:[0,0,1]
	v_pk_add_f32 v[0:1], v[0:1], v[12:13]
	s_mov_b32 s22, 0xbe11bafb
	v_pk_mul_f32 v[2:3], v[128:129], s[10:11] op_sel:[1,0] op_sel_hi:[0,0]
	v_mov_b32_e32 v4, v66
	v_mov_b32_e32 v5, v69
	s_mov_b32 s16, 0x3e903f40
	v_pk_fma_f32 v[54:55], v[126:127], s[22:23], v[2:3] op_sel_hi:[1,0,1]
	v_pk_fma_f32 v[56:57], v[126:127], s[22:23], v[2:3] op_sel_hi:[1,0,1] neg_lo:[0,0,1] neg_hi:[0,0,1]
	s_mov_b32 s30, 0xbf75a155
	v_pk_add_f32 v[0:1], v[4:5], v[0:1]
	v_pk_mul_f32 v[4:5], v[130:131], s[16:17] op_sel:[1,0] op_sel_hi:[0,0]
	v_mov_b32_e32 v2, v54
	v_mov_b32_e32 v3, v57
	v_pk_fma_f32 v[62:63], v[124:125], s[30:31], v[4:5] op_sel_hi:[1,0,1]
	v_pk_fma_f32 v[64:65], v[124:125], s[30:31], v[4:5] op_sel_hi:[1,0,1] neg_lo:[0,0,1] neg_hi:[0,0,1]
	v_pk_add_f32 v[2:3], v[2:3], v[12:13]
	v_mov_b32_e32 v4, v62
	v_mov_b32_e32 v5, v65
	v_pk_add_f32 v[134:135], v[26:27], v[28:29] neg_lo:[0,1] neg_hi:[0,1]
	v_pk_add_f32 v[2:3], v[4:5], v[2:3]
	v_pk_add_f32 v[132:133], v[28:29], v[26:27]
	v_pk_mul_f32 v[4:5], v[134:135], s[16:17] op_sel:[1,0] op_sel_hi:[0,0]
	v_pk_fma_f32 v[74:75], v[132:133], s[30:31], v[4:5] op_sel_hi:[1,0,1]
	v_pk_fma_f32 v[106:107], v[132:133], s[30:31], v[4:5] op_sel_hi:[1,0,1] neg_lo:[0,0,1] neg_hi:[0,0,1]
	v_mov_b32_e32 v4, v74
	v_mov_b32_e32 v5, v107
	s_mov_b32 s26, 0x3f68dda4
	v_pk_add_f32 v[0:1], v[4:5], v[0:1]
	v_pk_mul_f32 v[4:5], v[134:135], s[26:27] op_sel:[1,0] op_sel_hi:[0,0]
	v_pk_fma_f32 v[70:71], v[132:133], s[20:21], v[4:5] op_sel_hi:[1,0,1]
	v_pk_fma_f32 v[72:73], v[132:133], s[20:21], v[4:5] op_sel_hi:[1,0,1] neg_lo:[0,0,1] neg_hi:[0,0,1]
	v_mov_b32_e32 v4, v70
	v_mov_b32_e32 v5, v73
	s_mov_b32 s18, 0x3f7d64f0
	v_pk_add_f32 v[138:139], v[20:21], v[18:19] neg_lo:[0,1] neg_hi:[0,1]
	v_pk_add_f32 v[2:3], v[4:5], v[2:3]
	v_pk_add_f32 v[136:137], v[18:19], v[20:21]
	v_pk_mul_f32 v[4:5], v[138:139], s[18:19] op_sel:[1,0] op_sel_hi:[0,0]
	v_pk_fma_f32 v[112:113], v[136:137], s[22:23], v[4:5] op_sel_hi:[1,0,1]
	v_pk_fma_f32 v[114:115], v[136:137], s[22:23], v[4:5] op_sel_hi:[1,0,1] neg_lo:[0,0,1] neg_hi:[0,0,1]
	v_mov_b32_e32 v4, v112
	v_mov_b32_e32 v5, v115
	s_mov_b32 s24, 0xbf0a6770
	v_pk_add_f32 v[0:1], v[4:5], v[0:1]
	s_mov_b32 s38, 0x3f575c64
	v_pk_mul_f32 v[4:5], v[138:139], s[24:25] op_sel:[1,0] op_sel_hi:[0,0]
	v_pk_fma_f32 v[108:109], v[136:137], s[38:39], v[4:5] op_sel_hi:[1,0,1]
	v_pk_fma_f32 v[110:111], v[136:137], s[38:39], v[4:5] op_sel_hi:[1,0,1] neg_lo:[0,0,1] neg_hi:[0,0,1]
	v_mov_b32_e32 v4, v108
	v_mov_b32_e32 v5, v111
	s_mov_b32 s28, 0x3f0a6770
	v_pk_add_f32 v[142:143], v[22:23], v[16:17] neg_lo:[0,1] neg_hi:[0,1]
	v_pk_add_f32 v[4:5], v[4:5], v[2:3]
	v_pk_add_f32 v[140:141], v[16:17], v[22:23]
	v_pk_mul_f32 v[2:3], v[142:143], s[28:29] op_sel:[1,0] op_sel_hi:[0,0]
	v_pk_fma_f32 v[120:121], v[140:141], s[38:39], v[2:3] op_sel_hi:[1,0,1]
	v_pk_fma_f32 v[122:123], v[140:141], s[38:39], v[2:3] op_sel_hi:[1,0,1] neg_lo:[0,0,1] neg_hi:[0,0,1]
	v_mov_b32_e32 v2, v120
	v_mov_b32_e32 v3, v123
	v_pk_add_f32 v[2:3], v[2:3], v[0:1]
	v_pk_mul_f32 v[0:1], v[142:143], s[14:15] op_sel:[1,0] op_sel_hi:[0,0]
	v_pk_fma_f32 v[116:117], v[140:141], s[34:35], v[0:1] op_sel_hi:[1,0,1]
	v_pk_fma_f32 v[118:119], v[140:141], s[34:35], v[0:1] op_sel_hi:[1,0,1] neg_lo:[0,0,1] neg_hi:[0,0,1]
	v_mov_b32_e32 v0, v116
	v_mov_b32_e32 v1, v119
	v_pk_add_f32 v[0:1], v[0:1], v[4:5]
	v_pk_mul_f32 v[4:5], v[128:129], s[14:15] op_sel:[1,0] op_sel_hi:[0,0]
	v_pk_fma_f32 v[8:9], v[126:127], s[34:35], v[4:5] op_sel_hi:[1,0,1] neg_lo:[0,0,1] neg_hi:[0,0,1]
	v_pk_fma_f32 v[10:11], v[126:127], s[34:35], v[4:5] op_sel_hi:[1,0,1]
	v_pk_mul_f32 v[6:7], v[130:131], s[18:19] op_sel:[1,0] op_sel_hi:[0,0]
	v_mov_b32_e32 v4, v8
	v_mov_b32_e32 v5, v11
	v_pk_fma_f32 v[144:145], v[124:125], s[22:23], v[6:7] op_sel_hi:[1,0,1] neg_lo:[0,0,1] neg_hi:[0,0,1]
	v_pk_fma_f32 v[146:147], v[124:125], s[22:23], v[6:7] op_sel_hi:[1,0,1]
	v_pk_add_f32 v[4:5], v[4:5], v[12:13]
	v_mov_b32_e32 v6, v144
	v_mov_b32_e32 v7, v147
	v_pk_add_f32 v[4:5], v[6:7], v[4:5]
	v_pk_mul_f32 v[6:7], v[124:125], s[38:39] op_sel_hi:[1,0]
	s_mov_b32 s36, 0xbe903f40
	v_pk_fma_f32 v[148:149], v[130:131], s[28:29], v[6:7] op_sel:[1,0,0] op_sel_hi:[0,0,1] neg_lo:[1,0,0] neg_hi:[1,0,0]
	v_pk_fma_f32 v[150:151], v[130:131], s[28:29], v[6:7] op_sel:[1,0,0] op_sel_hi:[0,0,1]
	v_pk_mul_f32 v[6:7], v[128:129], s[36:37] op_sel:[1,0] op_sel_hi:[0,0]
	v_pk_fma_f32 v[152:153], v[126:127], s[30:31], v[6:7] op_sel_hi:[1,0,1] neg_lo:[0,0,1] neg_hi:[0,0,1]
	v_pk_fma_f32 v[154:155], v[126:127], s[30:31], v[6:7] op_sel_hi:[1,0,1]
	v_mov_b32_e32 v6, v152
	v_mov_b32_e32 v7, v155
	v_pk_add_f32 v[6:7], v[6:7], v[12:13]
	v_mov_b32_e32 v157, v149
	v_mov_b32_e32 v149, v151
	v_pk_add_f32 v[6:7], v[148:149], v[6:7]
	v_pk_mul_f32 v[148:149], v[132:133], s[38:39] op_sel_hi:[1,0]
	v_mov_b32_e32 v155, v153
	v_pk_fma_f32 v[160:161], v[134:135], s[24:25], v[148:149] op_sel:[1,0,0] op_sel_hi:[0,0,1] neg_lo:[1,0,0] neg_hi:[1,0,0]
	v_pk_fma_f32 v[148:149], v[134:135], s[24:25], v[148:149] op_sel:[1,0,0] op_sel_hi:[0,0,1]
	v_mov_b32_e32 v162, v160
	v_mov_b32_e32 v163, v149
	v_pk_add_f32 v[4:5], v[162:163], v[4:5]
	v_pk_mul_f32 v[162:163], v[132:133], s[34:35] op_sel_hi:[1,0]
	v_mov_b32_e32 v11, v9
	v_pk_fma_f32 v[164:165], v[134:135], s[14:15], v[162:163] op_sel:[1,0,0] op_sel_hi:[0,0,1] neg_lo:[1,0,0] neg_hi:[1,0,0]
	v_pk_fma_f32 v[162:163], v[134:135], s[14:15], v[162:163] op_sel:[1,0,0] op_sel_hi:[0,0,1]
	;; [unrolled: 7-line block ×3, first 2 shown]
	v_mov_b32_e32 v170, v168
	v_mov_b32_e32 v171, v167
	v_pk_add_f32 v[4:5], v[170:171], v[4:5]
	v_pk_mul_f32 v[170:171], v[138:139], s[26:27] op_sel:[1,0] op_sel_hi:[0,0]
	v_pk_fma_f32 v[172:173], v[136:137], s[20:21], v[170:171] op_sel_hi:[1,0,1] neg_lo:[0,0,1] neg_hi:[0,0,1]
	v_pk_fma_f32 v[170:171], v[136:137], s[20:21], v[170:171] op_sel_hi:[1,0,1]
	v_mov_b32_e32 v174, v172
	v_mov_b32_e32 v175, v171
	v_pk_add_f32 v[6:7], v[174:175], v[6:7]
	v_pk_mul_f32 v[174:175], v[142:143], s[26:27] op_sel:[1,0] op_sel_hi:[0,0]
	v_pk_fma_f32 v[176:177], v[140:141], s[20:21], v[174:175] op_sel_hi:[1,0,1] neg_lo:[0,0,1] neg_hi:[0,0,1]
	v_pk_fma_f32 v[174:175], v[140:141], s[20:21], v[174:175] op_sel_hi:[1,0,1]
	v_mov_b32_e32 v178, v176
	v_mov_b32_e32 v179, v175
	v_mov_b32_e32 v147, v145
	v_pk_add_f32 v[8:9], v[10:11], v[12:13]
	v_pk_add_f32 v[10:11], v[154:155], v[12:13]
	;; [unrolled: 1-line block ×3, first 2 shown]
	v_pk_mul_f32 v[178:179], v[142:143], s[10:11] op_sel:[1,0] op_sel_hi:[0,0]
	v_pk_add_f32 v[8:9], v[146:147], v[8:9]
	v_pk_add_f32 v[10:11], v[156:157], v[10:11]
	v_mov_b32_e32 v149, v161
	v_mov_b32_e32 v163, v165
	v_pk_fma_f32 v[180:181], v[140:141], s[22:23], v[178:179] op_sel_hi:[1,0,1] neg_lo:[0,0,1] neg_hi:[0,0,1]
	v_pk_fma_f32 v[178:179], v[140:141], s[22:23], v[178:179] op_sel_hi:[1,0,1]
	v_pk_add_f32 v[8:9], v[148:149], v[8:9]
	v_pk_add_f32 v[10:11], v[162:163], v[10:11]
	v_mov_b32_e32 v167, v169
	v_mov_b32_e32 v171, v173
	;; [unrolled: 1-line block ×3, first 2 shown]
	v_pk_add_f32 v[8:9], v[166:167], v[8:9]
	v_pk_add_f32 v[144:145], v[170:171], v[10:11]
	v_mov_b32_e32 v175, v177
	v_mov_b32_e32 v179, v181
	v_pk_add_f32 v[10:11], v[174:175], v[8:9]
	v_pk_add_f32 v[8:9], v[178:179], v[144:145]
	;; [unrolled: 1-line block ×5, first 2 shown]
	v_pk_add_f32 v[150:151], v[50:51], v[44:45] neg_lo:[0,1] neg_hi:[0,1]
	v_pk_add_f32 v[144:145], v[144:145], v[38:39]
	v_pk_add_f32 v[162:163], v[42:43], v[36:37]
	;; [unrolled: 1-line block ×5, first 2 shown]
	v_pk_add_f32 v[148:149], v[38:39], v[40:41] neg_lo:[0,1] neg_hi:[0,1]
	v_pk_add_f32 v[44:45], v[144:145], v[44:45]
	v_pk_add_f32 v[144:145], v[36:37], v[42:43] neg_lo:[0,1] neg_hi:[0,1]
	v_pk_add_f32 v[44:45], v[44:45], v[46:47]
	v_pk_add_f32 v[168:169], v[104:105], v[34:35]
	;; [unrolled: 1-line block ×3, first 2 shown]
	v_pk_mul_f32 v[40:41], v[128:129], s[24:25] op_sel:[1,0] op_sel_hi:[0,0]
	v_pk_add_f32 v[36:37], v[36:37], v[42:43]
	v_pk_add_f32 v[34:35], v[34:35], v[104:105] neg_lo:[0,1] neg_hi:[0,1]
	v_pk_fma_f32 v[38:39], v[126:127], s[38:39], v[40:41] op_sel_hi:[1,0,1]
	v_pk_fma_f32 v[128:129], v[126:127], s[38:39], v[40:41] op_sel_hi:[1,0,1] neg_lo:[0,0,1] neg_hi:[0,0,1]
	v_pk_add_f32 v[166:167], v[36:37], v[104:105]
	v_mov_b32_e32 v37, v169
	v_mov_b32_e32 v169, v34
	s_mov_b32 s39, s24
	v_pk_add_f32 v[156:157], v[46:47], v[48:49]
	v_pk_add_f32 v[146:147], v[48:49], v[46:47] neg_lo:[0,1] neg_hi:[0,1]
	v_pk_mul_f32 v[42:43], v[130:131], s[8:9] op_sel:[1,0] op_sel_hi:[0,0]
	v_pk_mul_f32 v[46:47], v[138:139], s[14:15] op_sel:[1,0] op_sel_hi:[0,0]
	v_mov_b32_e32 v36, v35
	s_mov_b32 s25, s38
	v_pk_mul_f32 v[138:139], v[168:169], s[38:39]
	v_pk_fma_f32 v[40:41], v[124:125], s[20:21], v[42:43] op_sel_hi:[1,0,1]
	v_pk_fma_f32 v[126:127], v[124:125], s[20:21], v[42:43] op_sel_hi:[1,0,1] neg_lo:[0,0,1] neg_hi:[0,0,1]
	v_pk_mul_f32 v[44:45], v[134:135], s[10:11] op_sel:[1,0] op_sel_hi:[0,0]
	v_mov_b32_e32 v35, v163
	v_mov_b32_e32 v163, v144
	v_pk_fma_f32 v[130:131], v[36:37], s[24:25], v[138:139] neg_lo:[1,0,0] neg_hi:[1,0,0]
	v_pk_fma_f32 v[104:105], v[36:37], s[24:25], v[138:139]
	s_mov_b32 s21, s8
	v_pk_fma_f32 v[42:43], v[132:133], s[22:23], v[44:45] op_sel_hi:[1,0,1]
	v_pk_fma_f32 v[124:125], v[132:133], s[22:23], v[44:45] op_sel_hi:[1,0,1] neg_lo:[0,0,1] neg_hi:[0,0,1]
	v_mov_b32_e32 v34, v145
	v_mov_b32_e32 v131, v105
	s_mov_b32 s9, s20
	v_pk_mul_f32 v[132:133], v[162:163], s[20:21]
	v_pk_fma_f32 v[44:45], v[136:137], s[34:35], v[46:47] op_sel_hi:[1,0,1]
	v_pk_fma_f32 v[50:51], v[136:137], s[34:35], v[46:47] op_sel_hi:[1,0,1] neg_lo:[0,0,1] neg_hi:[0,0,1]
	v_pk_add_f32 v[134:135], v[32:33], v[130:131]
	v_pk_fma_f32 v[136:137], v[34:35], s[8:9], v[132:133] neg_lo:[1,0,0] neg_hi:[1,0,0]
	v_pk_fma_f32 v[130:131], v[34:35], s[8:9], v[132:133]
	v_pk_mul_f32 v[48:49], v[142:143], s[36:37] op_sel:[1,0] op_sel_hi:[0,0]
	v_mov_b32_e32 v137, v131
	v_pk_add_f32 v[142:143], v[136:137], v[134:135]
	v_mov_b32_e32 v135, v165
	v_mov_b32_e32 v165, v148
	s_mov_b32 s23, s10
	v_pk_fma_f32 v[46:47], v[140:141], s[30:31], v[48:49] op_sel_hi:[1,0,1]
	v_pk_fma_f32 v[48:49], v[140:141], s[30:31], v[48:49] op_sel_hi:[1,0,1] neg_lo:[0,0,1] neg_hi:[0,0,1]
	v_mov_b32_e32 v134, v149
	s_mov_b32 s11, s22
	v_pk_mul_f32 v[140:141], v[164:165], s[22:23]
	s_mov_b32 s35, s14
	v_pk_fma_f32 v[144:145], v[134:135], s[10:11], v[140:141] neg_lo:[1,0,0] neg_hi:[1,0,0]
	v_pk_fma_f32 v[136:137], v[134:135], s[10:11], v[140:141]
	s_mov_b32 s15, s34
	v_mov_b32_e32 v145, v137
	v_pk_add_f32 v[148:149], v[144:145], v[142:143]
	v_mov_b32_e32 v143, v157
	v_mov_b32_e32 v157, v146
	;; [unrolled: 1-line block ×3, first 2 shown]
	v_pk_mul_f32 v[146:147], v[156:157], s[34:35]
	s_mov_b32 s31, s36
	v_pk_fma_f32 v[152:153], v[142:143], s[14:15], v[146:147] neg_lo:[1,0,0] neg_hi:[1,0,0]
	v_pk_fma_f32 v[144:145], v[142:143], s[14:15], v[146:147]
	s_mov_b32 s37, s30
	v_mov_b32_e32 v153, v145
	v_pk_add_f32 v[160:161], v[152:153], v[148:149]
	v_mov_b32_e32 v149, v155
	v_mov_b32_e32 v155, v150
	;; [unrolled: 1-line block ×3, first 2 shown]
	v_pk_mul_f32 v[152:153], v[154:155], s[30:31]
	v_mul_lo_u16_e32 v54, 11, v76
	v_pk_fma_f32 v[170:171], v[148:149], s[36:37], v[152:153] neg_lo:[1,0,0] neg_hi:[1,0,0]
	v_pk_fma_f32 v[150:151], v[148:149], s[36:37], v[152:153]
	s_nop 0
	v_mov_b32_e32 v171, v151
	v_pk_add_f32 v[170:171], v[170:171], v[160:161]
	v_lshl_add_u32 v160, v54, 3, v159
	; wave barrier
	ds_write2_b64 v160, v[166:167], v[170:171] offset1:1
	v_pk_mul_f32 v[166:167], v[168:169], s[20:21]
	v_pk_mul_f32 v[174:175], v[162:163], s[34:35]
	v_pk_fma_f32 v[170:171], v[36:37], s[8:9], v[166:167] neg_lo:[1,0,0] neg_hi:[1,0,0]
	v_pk_fma_f32 v[172:173], v[36:37], s[8:9], v[166:167]
	v_pk_fma_f32 v[176:177], v[34:35], s[14:15], v[174:175] neg_lo:[1,0,0] neg_hi:[1,0,0]
	v_mov_b32_e32 v171, v173
	v_pk_fma_f32 v[178:179], v[34:35], s[14:15], v[174:175]
	v_pk_add_f32 v[170:171], v[32:33], v[170:171]
	v_mov_b32_e32 v177, v179
	s_mov_b32 s40, s30
	s_mov_b32 s41, s16
	v_mov_b32_e32 v182, v180
	v_pk_add_f32 v[170:171], v[176:177], v[170:171]
	s_mov_b32 s17, s30
	v_pk_mul_f32 v[176:177], v[164:165], s[40:41]
	v_pk_add_f32 v[6:7], v[182:183], v[6:7]
	v_pk_fma_f32 v[180:181], v[134:135], s[16:17], v[176:177] neg_lo:[1,0,0] neg_hi:[1,0,0]
	v_pk_fma_f32 v[182:183], v[134:135], s[16:17], v[176:177]
	s_mov_b32 s42, s22
	v_mov_b32_e32 v181, v183
	s_mov_b32 s43, s18
	v_pk_add_f32 v[170:171], v[180:181], v[170:171]
	s_mov_b32 s19, s22
	v_pk_mul_f32 v[180:181], v[156:157], s[42:43]
	s_mov_b32 s44, s38
	v_pk_fma_f32 v[184:185], v[142:143], s[18:19], v[180:181] neg_lo:[1,0,0] neg_hi:[1,0,0]
	v_pk_fma_f32 v[186:187], v[142:143], s[18:19], v[180:181]
	s_mov_b32 s45, s28
	v_mov_b32_e32 v185, v187
	v_pk_add_f32 v[170:171], v[184:185], v[170:171]
	s_mov_b32 s29, s38
	v_pk_mul_f32 v[184:185], v[154:155], s[44:45]
	v_pk_mul_f32 v[196:197], v[162:163], s[40:41]
	v_pk_fma_f32 v[188:189], v[148:149], s[28:29], v[184:185] neg_lo:[1,0,0] neg_hi:[1,0,0]
	v_pk_fma_f32 v[190:191], v[148:149], s[28:29], v[184:185]
	v_pk_fma_f32 v[198:199], v[34:35], s[16:17], v[196:197] neg_lo:[1,0,0] neg_hi:[1,0,0]
	v_mov_b32_e32 v189, v191
	v_pk_add_f32 v[170:171], v[188:189], v[170:171]
	v_pk_mul_f32 v[188:189], v[168:169], s[22:23]
	v_pk_fma_f32 v[200:201], v[34:35], s[16:17], v[196:197]
	v_pk_fma_f32 v[192:193], v[36:37], s[10:11], v[188:189] neg_lo:[1,0,0] neg_hi:[1,0,0]
	v_pk_fma_f32 v[194:195], v[36:37], s[10:11], v[188:189]
	v_mov_b32_e32 v199, v201
	v_mov_b32_e32 v193, v195
	v_pk_add_f32 v[192:193], v[32:33], v[192:193]
	s_mov_b32 s21, s26
	v_pk_add_f32 v[192:193], v[198:199], v[192:193]
	s_mov_b32 s27, s20
	v_pk_mul_f32 v[198:199], v[164:165], s[20:21]
	v_pk_mul_f32 v[214:215], v[162:163], s[42:43]
	v_pk_fma_f32 v[202:203], v[134:135], s[26:27], v[198:199] neg_lo:[1,0,0] neg_hi:[1,0,0]
	v_pk_fma_f32 v[204:205], v[134:135], s[26:27], v[198:199]
	v_pk_fma_f32 v[216:217], v[34:35], s[18:19], v[214:215] neg_lo:[1,0,0] neg_hi:[1,0,0]
	v_mov_b32_e32 v203, v205
	v_pk_add_f32 v[192:193], v[202:203], v[192:193]
	v_pk_mul_f32 v[202:203], v[156:157], s[38:39]
	v_pk_fma_f32 v[218:219], v[34:35], s[18:19], v[214:215]
	v_pk_fma_f32 v[206:207], v[142:143], s[24:25], v[202:203] neg_lo:[1,0,0] neg_hi:[1,0,0]
	v_pk_fma_f32 v[208:209], v[142:143], s[24:25], v[202:203]
	v_mov_b32_e32 v217, v219
	v_mov_b32_e32 v207, v209
	v_pk_add_f32 v[192:193], v[206:207], v[192:193]
	v_pk_mul_f32 v[206:207], v[154:155], s[34:35]
	v_pk_mul_f32 v[162:163], v[162:163], s[44:45]
	v_pk_fma_f32 v[210:211], v[148:149], s[14:15], v[206:207] neg_lo:[1,0,0] neg_hi:[1,0,0]
	v_pk_fma_f32 v[212:213], v[148:149], s[14:15], v[206:207]
	v_pk_fma_f32 v[234:235], v[34:35], s[28:29], v[162:163] neg_lo:[1,0,0] neg_hi:[1,0,0]
	v_mov_b32_e32 v211, v213
	v_pk_add_f32 v[192:193], v[210:211], v[192:193]
	ds_write2_b64 v160, v[170:171], v[192:193] offset0:2 offset1:3
	v_pk_mul_f32 v[170:171], v[168:169], s[34:35]
	v_pk_mul_f32 v[168:169], v[168:169], s[30:31]
	v_pk_fma_f32 v[192:193], v[36:37], s[14:15], v[170:171] neg_lo:[1,0,0] neg_hi:[1,0,0]
	v_pk_fma_f32 v[210:211], v[36:37], s[14:15], v[170:171]
	v_pk_fma_f32 v[232:233], v[36:37], s[36:37], v[168:169]
	v_mov_b32_e32 v193, v211
	v_pk_add_f32 v[192:193], v[32:33], v[192:193]
	v_pk_fma_f32 v[236:237], v[34:35], s[28:29], v[162:163]
	v_pk_add_f32 v[192:193], v[216:217], v[192:193]
	v_pk_mul_f32 v[216:217], v[164:165], s[38:39]
	v_mov_b32_e32 v235, v237
	v_pk_fma_f32 v[220:221], v[134:135], s[24:25], v[216:217] neg_lo:[1,0,0] neg_hi:[1,0,0]
	v_pk_fma_f32 v[222:223], v[134:135], s[24:25], v[216:217]
	v_pk_mul_f32 v[164:165], v[164:165], s[34:35]
	v_mov_b32_e32 v221, v223
	v_pk_add_f32 v[192:193], v[220:221], v[192:193]
	v_pk_mul_f32 v[220:221], v[156:157], s[30:31]
	v_pk_fma_f32 v[238:239], v[134:135], s[14:15], v[164:165]
	v_pk_fma_f32 v[224:225], v[142:143], s[36:37], v[220:221] neg_lo:[1,0,0] neg_hi:[1,0,0]
	v_pk_fma_f32 v[226:227], v[142:143], s[36:37], v[220:221]
	v_pk_mul_f32 v[156:157], v[156:157], s[20:21]
	v_mov_b32_e32 v225, v227
	v_pk_add_f32 v[192:193], v[224:225], v[192:193]
	v_pk_mul_f32 v[224:225], v[154:155], s[20:21]
	v_pk_fma_f32 v[162:163], v[34:35], s[28:29], v[162:163] neg_lo:[0,0,1] neg_hi:[0,0,1]
	v_pk_fma_f32 v[228:229], v[148:149], s[26:27], v[224:225] neg_lo:[1,0,0] neg_hi:[1,0,0]
	v_pk_fma_f32 v[230:231], v[148:149], s[26:27], v[224:225]
	v_pk_fma_f32 v[240:241], v[142:143], s[26:27], v[156:157]
	v_mov_b32_e32 v229, v231
	v_pk_add_f32 v[192:193], v[228:229], v[192:193]
	v_pk_fma_f32 v[228:229], v[36:37], s[36:37], v[168:169] neg_lo:[1,0,0] neg_hi:[1,0,0]
	v_pk_fma_f32 v[168:169], v[36:37], s[36:37], v[168:169] neg_lo:[0,0,1] neg_hi:[0,0,1]
	v_mov_b32_e32 v229, v233
	v_pk_add_f32 v[228:229], v[32:33], v[228:229]
	v_mov_b32_e32 v233, v169
	v_pk_add_f32 v[228:229], v[234:235], v[228:229]
	v_pk_fma_f32 v[234:235], v[134:135], s[14:15], v[164:165] neg_lo:[1,0,0] neg_hi:[1,0,0]
	v_mov_b32_e32 v237, v163
	v_mov_b32_e32 v235, v239
	v_pk_add_f32 v[228:229], v[234:235], v[228:229]
	v_pk_fma_f32 v[234:235], v[142:143], s[26:27], v[156:157] neg_lo:[1,0,0] neg_hi:[1,0,0]
	v_pk_add_f32 v[162:163], v[32:33], v[232:233]
	v_pk_fma_f32 v[164:165], v[134:135], s[14:15], v[164:165] neg_lo:[0,0,1] neg_hi:[0,0,1]
	v_mov_b32_e32 v235, v241
	v_pk_mul_f32 v[154:155], v[154:155], s[22:23]
	v_pk_add_f32 v[162:163], v[236:237], v[162:163]
	v_mov_b32_e32 v239, v165
	v_pk_fma_f32 v[156:157], v[142:143], s[26:27], v[156:157] neg_lo:[0,0,1] neg_hi:[0,0,1]
	v_pk_add_f32 v[228:229], v[234:235], v[228:229]
	v_pk_fma_f32 v[234:235], v[148:149], s[10:11], v[154:155] neg_lo:[1,0,0] neg_hi:[1,0,0]
	v_pk_fma_f32 v[242:243], v[148:149], s[10:11], v[154:155]
	v_pk_add_f32 v[162:163], v[238:239], v[162:163]
	v_mov_b32_e32 v241, v157
	v_pk_fma_f32 v[154:155], v[148:149], s[10:11], v[154:155] neg_lo:[0,0,1] neg_hi:[0,0,1]
	v_mov_b32_e32 v235, v243
	v_pk_add_f32 v[156:157], v[240:241], v[162:163]
	v_mov_b32_e32 v243, v155
	v_pk_add_f32 v[154:155], v[242:243], v[156:157]
	v_pk_fma_f32 v[156:157], v[36:37], s[14:15], v[170:171] neg_lo:[0,0,1] neg_hi:[0,0,1]
	v_pk_fma_f32 v[162:163], v[134:135], s[24:25], v[216:217] neg_lo:[0,0,1] neg_hi:[0,0,1]
	v_mov_b32_e32 v211, v157
	v_pk_fma_f32 v[156:157], v[34:35], s[18:19], v[214:215] neg_lo:[0,0,1] neg_hi:[0,0,1]
	v_mov_b32_e32 v223, v163
	v_mov_b32_e32 v219, v157
	v_pk_add_f32 v[156:157], v[32:33], v[210:211]
	v_pk_fma_f32 v[162:163], v[142:143], s[36:37], v[220:221] neg_lo:[0,0,1] neg_hi:[0,0,1]
	v_pk_add_f32 v[156:157], v[218:219], v[156:157]
	v_mov_b32_e32 v227, v163
	v_pk_add_f32 v[156:157], v[222:223], v[156:157]
	v_pk_fma_f32 v[162:163], v[148:149], s[26:27], v[224:225] neg_lo:[0,0,1] neg_hi:[0,0,1]
	v_pk_add_f32 v[156:157], v[226:227], v[156:157]
	v_mov_b32_e32 v231, v163
	v_pk_add_f32 v[156:157], v[230:231], v[156:157]
	ds_write2_b64 v160, v[154:155], v[156:157] offset0:6 offset1:7
	v_pk_fma_f32 v[156:157], v[134:135], s[26:27], v[198:199] neg_lo:[0,0,1] neg_hi:[0,0,1]
	v_pk_fma_f32 v[154:155], v[36:37], s[10:11], v[188:189] neg_lo:[0,0,1] neg_hi:[0,0,1]
	v_mov_b32_e32 v205, v157
	v_pk_fma_f32 v[156:157], v[142:143], s[24:25], v[202:203] neg_lo:[0,0,1] neg_hi:[0,0,1]
	v_mov_b32_e32 v195, v155
	v_mov_b32_e32 v209, v157
	v_pk_fma_f32 v[156:157], v[148:149], s[14:15], v[206:207] neg_lo:[0,0,1] neg_hi:[0,0,1]
	v_pk_fma_f32 v[154:155], v[34:35], s[16:17], v[196:197] neg_lo:[0,0,1] neg_hi:[0,0,1]
	v_mov_b32_e32 v213, v157
	v_pk_fma_f32 v[156:157], v[36:37], s[8:9], v[166:167] neg_lo:[0,0,1] neg_hi:[0,0,1]
	v_pk_fma_f32 v[36:37], v[36:37], s[24:25], v[138:139] neg_lo:[0,0,1] neg_hi:[0,0,1]
	v_mov_b32_e32 v173, v157
	v_pk_fma_f32 v[156:157], v[34:35], s[14:15], v[174:175] neg_lo:[0,0,1] neg_hi:[0,0,1]
	v_mov_b32_e32 v105, v37
	v_mov_b32_e32 v36, v38
	;; [unrolled: 1-line block ×4, first 2 shown]
	v_pk_add_f32 v[154:155], v[32:33], v[194:195]
	v_mov_b32_e32 v179, v157
	v_pk_add_f32 v[156:157], v[32:33], v[172:173]
	v_pk_add_f32 v[32:33], v[32:33], v[104:105]
	;; [unrolled: 1-line block ×3, first 2 shown]
	v_mov_b32_e32 v104, v40
	v_mov_b32_e32 v105, v127
	v_pk_fma_f32 v[34:35], v[34:35], s[8:9], v[132:133] neg_lo:[0,0,1] neg_hi:[0,0,1]
	v_pk_fma_f32 v[162:163], v[134:135], s[16:17], v[176:177] neg_lo:[0,0,1] neg_hi:[0,0,1]
	v_pk_add_f32 v[36:37], v[104:105], v[36:37]
	v_mov_b32_e32 v104, v42
	v_mov_b32_e32 v105, v125
	;; [unrolled: 1-line block ×3, first 2 shown]
	v_pk_fma_f32 v[34:35], v[134:135], s[10:11], v[140:141] neg_lo:[0,0,1] neg_hi:[0,0,1]
	v_pk_add_f32 v[154:155], v[200:201], v[154:155]
	v_pk_add_f32 v[156:157], v[178:179], v[156:157]
	v_mov_b32_e32 v183, v163
	v_pk_fma_f32 v[162:163], v[142:143], s[18:19], v[180:181] neg_lo:[0,0,1] neg_hi:[0,0,1]
	v_pk_add_f32 v[36:37], v[104:105], v[36:37]
	v_mov_b32_e32 v104, v44
	v_mov_b32_e32 v105, v51
	v_pk_add_f32 v[32:33], v[130:131], v[32:33]
	v_mov_b32_e32 v137, v35
	v_pk_fma_f32 v[34:35], v[142:143], s[14:15], v[146:147] neg_lo:[0,0,1] neg_hi:[0,0,1]
	v_pk_add_f32 v[154:155], v[204:205], v[154:155]
	v_pk_add_f32 v[156:157], v[182:183], v[156:157]
	v_mov_b32_e32 v187, v163
	v_pk_fma_f32 v[162:163], v[148:149], s[28:29], v[184:185] neg_lo:[0,0,1] neg_hi:[0,0,1]
	v_pk_add_f32 v[36:37], v[104:105], v[36:37]
	v_mov_b32_e32 v104, v46
	v_mov_b32_e32 v105, v49
	v_pk_add_f32 v[32:33], v[136:137], v[32:33]
	v_mov_b32_e32 v145, v35
	v_pk_fma_f32 v[34:35], v[148:149], s[36:37], v[152:153] neg_lo:[0,0,1] neg_hi:[0,0,1]
	v_pk_add_f32 v[154:155], v[208:209], v[154:155]
	v_pk_add_f32 v[156:157], v[186:187], v[156:157]
	v_mov_b32_e32 v191, v163
	v_pk_add_f32 v[104:105], v[104:105], v[36:37]
	v_pk_add_f32 v[32:33], v[144:145], v[32:33]
	v_mov_b32_e32 v151, v35
	v_lshl_add_u64 v[36:37], v[76:77], 0, 11
	v_pk_add_f32 v[228:229], v[234:235], v[228:229]
	v_pk_add_f32 v[154:155], v[212:213], v[154:155]
	;; [unrolled: 1-line block ×4, first 2 shown]
	v_mul_u32_u24_e32 v145, 11, v36
	ds_write2_b64 v160, v[192:193], v[228:229] offset0:4 offset1:5
	ds_write2_b64 v160, v[154:155], v[156:157] offset0:8 offset1:9
	ds_write_b64 v160, v[32:33] offset:80
	s_and_saveexec_b64 s[8:9], vcc
	s_cbranch_execz .LBB0_7
; %bb.6:
	v_pk_add_f32 v[14:15], v[14:15], v[12:13]
	v_mov_b32_e32 v129, v39
	v_pk_add_f32 v[14:15], v[24:25], v[14:15]
	v_mov_b32_e32 v127, v41
	v_pk_add_f32 v[14:15], v[26:27], v[14:15]
	v_mov_b32_e32 v125, v43
	v_pk_add_f32 v[14:15], v[20:21], v[14:15]
	v_mov_b32_e32 v51, v45
	v_pk_add_f32 v[14:15], v[22:23], v[14:15]
	v_mov_b32_e32 v49, v47
	v_pk_add_f32 v[14:15], v[16:17], v[14:15]
	v_pk_add_f32 v[16:17], v[128:129], v[12:13]
	;; [unrolled: 1-line block ×8, first 2 shown]
	v_lshl_add_u32 v32, v145, 3, v159
	v_pk_add_f32 v[14:15], v[52:53], v[14:15]
	v_pk_add_f32 v[16:17], v[48:49], v[16:17]
	v_mov_b32_e32 v61, v59
	v_mov_b32_e32 v57, v55
	ds_write2_b64 v32, v[14:15], v[16:17] offset1:1
	v_pk_add_f32 v[14:15], v[60:61], v[12:13]
	v_mov_b32_e32 v69, v67
	v_pk_add_f32 v[12:13], v[56:57], v[12:13]
	v_mov_b32_e32 v65, v63
	;; [unrolled: 2-line block ×8, first 2 shown]
	v_pk_add_f32 v[14:15], v[122:123], v[14:15]
	v_pk_add_f32 v[12:13], v[118:119], v[12:13]
	ds_write2_b64 v32, v[14:15], v[12:13] offset0:2 offset1:3
	ds_write2_b64 v32, v[4:5], v[6:7] offset0:4 offset1:5
	;; [unrolled: 1-line block ×4, first 2 shown]
	ds_write_b64 v32, v[104:105] offset:80
.LBB0_7:
	s_or_b64 exec, exec, s[8:9]
	v_lshlrev_b32_e32 v56, 5, v76
	s_waitcnt lgkmcnt(0)
	; wave barrier
	s_waitcnt lgkmcnt(0)
	global_load_dwordx4 v[16:19], v56, s[0:1]
	global_load_dwordx4 v[12:15], v56, s[0:1] offset:16
	v_lshl_add_u64 v[38:39], v[76:77], 0, 22
	s_movk_i32 s8, 0x75
	v_mul_lo_u16_sdwa v20, v38, s8 dst_sel:DWORD dst_unused:UNUSED_PAD src0_sel:BYTE_0 src1_sel:DWORD
	v_sub_u16_sdwa v21, v38, v20 dst_sel:DWORD dst_unused:UNUSED_PAD src0_sel:DWORD src1_sel:BYTE_1
	v_lshrrev_b16_e32 v21, 1, v21
	v_and_b32_e32 v21, 0x7f, v21
	v_add_u16_sdwa v20, v21, v20 dst_sel:DWORD dst_unused:UNUSED_PAD src0_sel:DWORD src1_sel:BYTE_1
	v_lshrrev_b16_e32 v20, 3, v20
	v_mul_lo_u16_e32 v20, 11, v20
	v_sub_u16_e32 v37, v38, v20
	v_lshlrev_b16_e32 v20, 2, v37
	v_and_b32_e32 v20, 0xfc, v20
	v_lshlrev_b32_e32 v28, 3, v20
	global_load_dwordx4 v[24:27], v28, s[0:1]
	global_load_dwordx4 v[20:23], v28, s[0:1] offset:16
	ds_read2_b64 v[32:35], v93 offset1:11
	ds_read2_b64 v[28:31], v93 offset0:22 offset1:33
	ds_read2_b64 v[40:43], v93 offset0:66 offset1:77
	;; [unrolled: 1-line block ×6, first 2 shown]
	ds_read_b64 v[62:63], v93 offset:1232
	s_mov_b32 s8, 0x3f737871
	s_mov_b32 s14, 0x3f167918
	;; [unrolled: 1-line block ×3, first 2 shown]
	s_waitcnt lgkmcnt(0)
	; wave barrier
	s_waitcnt lgkmcnt(0)
	v_and_b32_e32 v37, 0xff, v37
	v_lshl_add_u32 v144, v37, 3, v159
	v_lshlrev_b32_e32 v77, 4, v76
	v_lshlrev_b32_e32 v36, 4, v36
	v_mov_b32_e32 v57, 0
	s_waitcnt vmcnt(3)
	v_pk_mul_f32 v[64:65], v[30:31], v[16:17] op_sel:[0,1]
	v_mov_b32_e32 v66, v19
	s_waitcnt vmcnt(2)
	v_pk_mul_f32 v[68:69], v[46:47], v[12:13] op_sel:[0,1]
	v_mov_b32_e32 v70, v15
	v_pk_fma_f32 v[72:73], v[30:31], v[16:17], v[64:65] op_sel:[0,0,1] op_sel_hi:[1,1,0] neg_lo:[0,0,1] neg_hi:[0,0,1]
	v_pk_fma_f32 v[30:31], v[30:31], v[16:17], v[64:65] op_sel:[0,0,1] op_sel_hi:[1,0,0]
	v_pk_mul_f32 v[64:65], v[40:41], v[66:67] op_sel_hi:[1,0]
	v_pk_fma_f32 v[74:75], v[46:47], v[12:13], v[68:69] op_sel:[0,0,1] op_sel_hi:[1,1,0] neg_lo:[0,0,1] neg_hi:[0,0,1]
	v_pk_fma_f32 v[46:47], v[46:47], v[12:13], v[68:69] op_sel:[0,0,1] op_sel_hi:[1,0,0]
	v_pk_mul_f32 v[68:69], v[48:49], v[70:71] op_sel_hi:[1,0]
	v_mov_b32_e32 v73, v31
	v_pk_fma_f32 v[30:31], v[40:41], v[18:19], v[64:65] op_sel:[0,0,1] op_sel_hi:[1,1,0] neg_lo:[0,0,1] neg_hi:[0,0,1]
	v_pk_fma_f32 v[40:41], v[40:41], v[18:19], v[64:65] op_sel:[0,0,1] op_sel_hi:[1,0,0]
	v_mov_b32_e32 v75, v47
	v_pk_fma_f32 v[46:47], v[48:49], v[14:15], v[68:69] op_sel:[0,0,1] op_sel_hi:[1,1,0] neg_lo:[0,0,1] neg_hi:[0,0,1]
	v_pk_fma_f32 v[48:49], v[48:49], v[14:15], v[68:69] op_sel:[0,0,1] op_sel_hi:[1,0,0]
	v_mov_b32_e32 v31, v41
	v_mov_b32_e32 v47, v49
	v_pk_add_f32 v[40:41], v[32:33], v[72:73]
	v_pk_add_f32 v[48:49], v[30:31], v[74:75]
	;; [unrolled: 1-line block ×4, first 2 shown]
	v_pk_fma_f32 v[48:49], v[48:49], 0.5, v[32:33] op_sel_hi:[1,0,1] neg_lo:[1,0,0] neg_hi:[1,0,0]
	v_pk_fma_f32 v[32:33], v[110:111], 0.5, v[32:33] op_sel_hi:[1,0,1] neg_lo:[1,0,0] neg_hi:[1,0,0]
	v_pk_mul_f32 v[110:111], v[52:53], v[16:17] op_sel:[0,1]
	v_pk_add_f32 v[64:65], v[72:73], v[46:47] neg_lo:[0,1] neg_hi:[0,1]
	v_pk_add_f32 v[68:69], v[30:31], v[74:75] neg_lo:[0,1] neg_hi:[0,1]
	;; [unrolled: 1-line block ×5, first 2 shown]
	v_pk_add_f32 v[40:41], v[40:41], v[74:75]
	v_pk_fma_f32 v[112:113], v[52:53], v[16:17], v[110:111] op_sel:[0,0,1] op_sel_hi:[1,1,0] neg_lo:[0,0,1] neg_hi:[0,0,1]
	v_pk_fma_f32 v[52:53], v[52:53], v[16:17], v[110:111] op_sel:[0,0,1] op_sel_hi:[1,0,0]
	v_pk_add_f32 v[108:109], v[46:47], v[74:75] neg_lo:[0,1] neg_hi:[0,1]
	v_pk_add_f32 v[30:31], v[30:31], v[72:73]
	v_pk_fma_f32 v[72:73], v[64:65], s[8:9], v[48:49] op_sel:[1,0,0] op_sel_hi:[0,0,1]
	v_pk_fma_f32 v[48:49], v[64:65], s[8:9], v[48:49] op_sel:[1,0,0] op_sel_hi:[0,0,1] neg_lo:[1,0,0] neg_hi:[1,0,0]
	v_pk_add_f32 v[40:41], v[40:41], v[46:47]
	v_pk_fma_f32 v[46:47], v[68:69], s[8:9], v[32:33] op_sel:[1,0,0] op_sel_hi:[0,0,1] neg_lo:[1,0,0] neg_hi:[1,0,0]
	v_pk_fma_f32 v[32:33], v[68:69], s[8:9], v[32:33] op_sel:[1,0,0] op_sel_hi:[0,0,1]
	v_mov_b32_e32 v113, v53
	v_pk_mul_f32 v[52:53], v[42:43], v[66:67] op_sel_hi:[1,0]
	v_pk_fma_f32 v[48:49], v[68:69], s[14:15], v[48:49] op_sel:[1,0,0] op_sel_hi:[0,0,1] neg_lo:[1,0,0] neg_hi:[1,0,0]
	v_pk_fma_f32 v[68:69], v[68:69], s[14:15], v[72:73] op_sel:[1,0,0] op_sel_hi:[0,0,1]
	v_pk_fma_f32 v[32:33], v[64:65], s[14:15], v[32:33] op_sel:[1,0,0] op_sel_hi:[0,0,1] neg_lo:[1,0,0] neg_hi:[1,0,0]
	v_pk_fma_f32 v[46:47], v[64:65], s[14:15], v[46:47] op_sel:[1,0,0] op_sel_hi:[0,0,1]
	;; [unrolled: 2-line block ×3, first 2 shown]
	v_pk_add_f32 v[106:107], v[106:107], v[108:109]
	v_mov_b32_e32 v64, v68
	v_mov_b32_e32 v65, v49
	;; [unrolled: 1-line block ×6, first 2 shown]
	v_pk_mul_f32 v[42:43], v[58:59], v[12:13] op_sel:[0,1]
	v_pk_fma_f32 v[46:47], v[106:107], s[10:11], v[64:65] op_sel_hi:[1,0,1]
	v_pk_fma_f32 v[64:65], v[30:31], s[10:11], v[72:73] op_sel_hi:[1,0,1]
	;; [unrolled: 1-line block ×3, first 2 shown]
	v_pk_fma_f32 v[52:53], v[58:59], v[12:13], v[42:43] op_sel:[0,0,1] op_sel_hi:[1,1,0] neg_lo:[0,0,1] neg_hi:[0,0,1]
	v_pk_fma_f32 v[42:43], v[58:59], v[12:13], v[42:43] op_sel:[0,0,1] op_sel_hi:[1,0,0]
	ds_write2_b64 v93, v[40:41], v[46:47] offset1:11
	ds_write2_b64 v93, v[64:65], v[30:31] offset0:22 offset1:33
	v_mov_b32_e32 v53, v43
	v_pk_mul_f32 v[42:43], v[50:51], v[70:71] op_sel_hi:[1,0]
	v_pk_add_f32 v[30:31], v[34:35], v[112:113]
	v_mov_b32_e32 v49, v69
	v_pk_fma_f32 v[58:59], v[50:51], v[14:15], v[42:43] op_sel:[0,0,1] op_sel_hi:[1,1,0] neg_lo:[0,0,1] neg_hi:[0,0,1]
	v_pk_fma_f32 v[42:43], v[50:51], v[14:15], v[42:43] op_sel:[0,0,1] op_sel_hi:[1,0,0]
	v_pk_add_f32 v[30:31], v[30:31], v[66:67]
	v_pk_fma_f32 v[32:33], v[106:107], s[10:11], v[48:49] op_sel_hi:[1,0,1]
	s_waitcnt vmcnt(1)
	v_pk_mul_f32 v[48:49], v[54:55], v[24:25] op_sel:[0,1]
	v_mov_b32_e32 v68, v27
	v_mov_b32_e32 v59, v43
	v_pk_add_f32 v[30:31], v[30:31], v[52:53]
	s_waitcnt vmcnt(0)
	v_pk_mul_f32 v[72:73], v[60:61], v[20:21] op_sel:[0,1]
	v_pk_fma_f32 v[74:75], v[54:55], v[24:25], v[48:49] op_sel:[0,0,1] op_sel_hi:[1,1,0] neg_lo:[0,0,1] neg_hi:[0,0,1]
	v_pk_fma_f32 v[48:49], v[54:55], v[24:25], v[48:49] op_sel:[0,0,1] op_sel_hi:[1,0,0]
	v_pk_mul_f32 v[54:55], v[44:45], v[68:69] op_sel_hi:[1,0]
	v_pk_add_f32 v[42:43], v[66:67], v[52:53]
	v_pk_add_f32 v[30:31], v[30:31], v[58:59]
	v_mov_b32_e32 v75, v49
	v_pk_fma_f32 v[48:49], v[44:45], v[26:27], v[54:55] op_sel:[0,0,1] op_sel_hi:[1,1,0] neg_lo:[0,0,1] neg_hi:[0,0,1]
	v_pk_fma_f32 v[44:45], v[44:45], v[26:27], v[54:55] op_sel:[0,0,1] op_sel_hi:[1,0,0]
	v_pk_fma_f32 v[54:55], v[60:61], v[20:21], v[72:73] op_sel:[0,0,1] op_sel_hi:[1,0,0]
	v_pk_fma_f32 v[42:43], v[42:43], 0.5, v[34:35] op_sel_hi:[1,0,1] neg_lo:[1,0,0] neg_hi:[1,0,0]
	v_pk_add_f32 v[50:51], v[112:113], v[58:59] neg_lo:[0,1] neg_hi:[0,1]
	v_pk_add_f32 v[110:111], v[112:113], v[66:67] neg_lo:[0,1] neg_hi:[0,1]
	;; [unrolled: 1-line block ×3, first 2 shown]
	ds_write2_b64 v93, v[32:33], v[30:31] offset0:44 offset1:55
	v_pk_add_f32 v[32:33], v[112:113], v[58:59]
	v_mov_b32_e32 v49, v45
	v_pk_fma_f32 v[44:45], v[60:61], v[20:21], v[72:73] op_sel:[0,0,1] op_sel_hi:[1,1,0] neg_lo:[0,0,1] neg_hi:[0,0,1]
	v_mov_b32_e32 v54, v23
	v_pk_add_f32 v[70:71], v[66:67], v[52:53] neg_lo:[0,1] neg_hi:[0,1]
	v_pk_add_f32 v[110:111], v[110:111], v[114:115]
	v_pk_fma_f32 v[114:115], v[50:51], s[8:9], v[42:43] op_sel:[1,0,0] op_sel_hi:[0,0,1] neg_lo:[1,0,0] neg_hi:[1,0,0]
	v_pk_fma_f32 v[42:43], v[50:51], s[8:9], v[42:43] op_sel:[1,0,0] op_sel_hi:[0,0,1]
	v_pk_fma_f32 v[32:33], v[32:33], 0.5, v[34:35] op_sel_hi:[1,0,1] neg_lo:[1,0,0] neg_hi:[1,0,0]
	v_pk_add_f32 v[34:35], v[66:67], v[112:113] neg_lo:[0,1] neg_hi:[0,1]
	v_pk_add_f32 v[40:41], v[52:53], v[58:59] neg_lo:[0,1] neg_hi:[0,1]
	v_mov_b32_e32 v45, v55
	v_pk_mul_f32 v[54:55], v[62:63], v[54:55] op_sel_hi:[1,0]
	v_pk_fma_f32 v[42:43], v[70:71], s[14:15], v[42:43] op_sel:[1,0,0] op_sel_hi:[0,0,1]
	v_pk_fma_f32 v[114:115], v[70:71], s[14:15], v[114:115] op_sel:[1,0,0] op_sel_hi:[0,0,1] neg_lo:[1,0,0] neg_hi:[1,0,0]
	v_pk_add_f32 v[34:35], v[34:35], v[40:41]
	v_pk_fma_f32 v[40:41], v[70:71], s[8:9], v[32:33] op_sel:[1,0,0] op_sel_hi:[0,0,1]
	v_pk_fma_f32 v[32:33], v[70:71], s[8:9], v[32:33] op_sel:[1,0,0] op_sel_hi:[0,0,1] neg_lo:[1,0,0] neg_hi:[1,0,0]
	v_pk_fma_f32 v[60:61], v[62:63], v[22:23], v[54:55] op_sel:[0,0,1] op_sel_hi:[1,1,0] neg_lo:[0,0,1] neg_hi:[0,0,1]
	v_pk_fma_f32 v[54:55], v[62:63], v[22:23], v[54:55] op_sel:[0,0,1] op_sel_hi:[1,0,0]
	v_mov_b32_e32 v117, v43
	v_mov_b32_e32 v43, v115
	v_pk_fma_f32 v[32:33], v[50:51], s[14:15], v[32:33] op_sel:[1,0,0] op_sel_hi:[0,0,1]
	v_pk_fma_f32 v[40:41], v[50:51], s[14:15], v[40:41] op_sel:[1,0,0] op_sel_hi:[0,0,1] neg_lo:[1,0,0] neg_hi:[1,0,0]
	v_mov_b32_e32 v61, v55
	v_pk_add_f32 v[54:55], v[48:49], v[44:45]
	v_pk_fma_f32 v[30:31], v[110:111], s[10:11], v[42:43] op_sel_hi:[1,0,1]
	v_mov_b32_e32 v43, v33
	v_mov_b32_e32 v33, v41
	v_pk_fma_f32 v[54:55], v[54:55], 0.5, v[28:29] op_sel_hi:[1,0,1] neg_lo:[1,0,0] neg_hi:[1,0,0]
	v_pk_add_f32 v[62:63], v[74:75], v[60:61] neg_lo:[0,1] neg_hi:[0,1]
	v_pk_add_f32 v[72:73], v[74:75], v[48:49] neg_lo:[0,1] neg_hi:[0,1]
	;; [unrolled: 1-line block ×3, first 2 shown]
	v_mov_b32_e32 v116, v114
	v_mov_b32_e32 v42, v40
	v_pk_fma_f32 v[32:33], v[34:35], s[10:11], v[32:33] op_sel_hi:[1,0,1]
	v_pk_add_f32 v[68:69], v[48:49], v[44:45] neg_lo:[0,1] neg_hi:[0,1]
	v_pk_add_f32 v[72:73], v[72:73], v[106:107]
	v_pk_fma_f32 v[106:107], v[62:63], s[8:9], v[54:55] op_sel:[1,0,0] op_sel_hi:[0,0,1] neg_lo:[1,0,0] neg_hi:[1,0,0]
	v_pk_fma_f32 v[54:55], v[62:63], s[8:9], v[54:55] op_sel:[1,0,0] op_sel_hi:[0,0,1]
	v_pk_fma_f32 v[116:117], v[110:111], s[10:11], v[116:117] op_sel_hi:[1,0,1]
	v_pk_fma_f32 v[42:43], v[34:35], s[10:11], v[42:43] op_sel_hi:[1,0,1]
	ds_write2_b64 v93, v[30:31], v[32:33] offset0:66 offset1:77
	ds_write2_b64 v93, v[42:43], v[116:117] offset0:88 offset1:99
	v_pk_add_f32 v[30:31], v[28:29], v[74:75]
	v_pk_fma_f32 v[54:55], v[68:69], s[14:15], v[54:55] op_sel:[1,0,0] op_sel_hi:[0,0,1]
	v_pk_fma_f32 v[106:107], v[68:69], s[14:15], v[106:107] op_sel:[1,0,0] op_sel_hi:[0,0,1] neg_lo:[1,0,0] neg_hi:[1,0,0]
	v_pk_add_f32 v[30:31], v[30:31], v[48:49]
	v_mov_b32_e32 v109, v55
	v_pk_add_f32 v[30:31], v[30:31], v[44:45]
	v_mov_b32_e32 v55, v107
	v_pk_add_f32 v[30:31], v[30:31], v[60:61]
	v_pk_fma_f32 v[32:33], v[72:73], s[10:11], v[54:55] op_sel_hi:[1,0,1]
	ds_write2_b64 v144, v[30:31], v[32:33] offset0:110 offset1:121
	v_pk_add_f32 v[30:31], v[74:75], v[60:61]
	v_pk_add_f32 v[32:33], v[44:45], v[60:61] neg_lo:[0,1] neg_hi:[0,1]
	v_pk_fma_f32 v[28:29], v[30:31], 0.5, v[28:29] op_sel_hi:[1,0,1] neg_lo:[1,0,0] neg_hi:[1,0,0]
	v_pk_add_f32 v[30:31], v[48:49], v[74:75] neg_lo:[0,1] neg_hi:[0,1]
	v_mov_b32_e32 v108, v106
	v_pk_add_f32 v[30:31], v[30:31], v[32:33]
	v_pk_fma_f32 v[32:33], v[68:69], s[8:9], v[28:29] op_sel:[1,0,0] op_sel_hi:[0,0,1]
	v_pk_fma_f32 v[28:29], v[68:69], s[8:9], v[28:29] op_sel:[1,0,0] op_sel_hi:[0,0,1] neg_lo:[1,0,0] neg_hi:[1,0,0]
	v_pk_fma_f32 v[28:29], v[62:63], s[14:15], v[28:29] op_sel:[1,0,0] op_sel_hi:[0,0,1]
	v_pk_fma_f32 v[32:33], v[62:63], s[14:15], v[32:33] op_sel:[1,0,0] op_sel_hi:[0,0,1] neg_lo:[1,0,0] neg_hi:[1,0,0]
	v_mov_b32_e32 v34, v32
	v_mov_b32_e32 v35, v29
	;; [unrolled: 1-line block ×3, first 2 shown]
	v_pk_fma_f32 v[34:35], v[30:31], s[10:11], v[34:35] op_sel_hi:[1,0,1]
	v_pk_fma_f32 v[28:29], v[30:31], s[10:11], v[28:29] op_sel_hi:[1,0,1]
	;; [unrolled: 1-line block ×3, first 2 shown]
	ds_write2_b64 v144, v[28:29], v[34:35] offset0:132 offset1:143
	ds_write_b64 v144, v[108:109] offset:1232
	v_add_u32_e32 v28, 0x210, v77
	s_waitcnt lgkmcnt(0)
	; wave barrier
	s_waitcnt lgkmcnt(0)
	global_load_dwordx4 v[32:35], v28, s[0:1] offset:352
	global_load_dwordx4 v[40:43], v36, s[0:1] offset:352
	v_add_u32_e32 v28, 0x2c0, v77
	global_load_dwordx4 v[28:31], v28, s[0:1] offset:352
	v_lshlrev_b32_e32 v36, 4, v38
	global_load_dwordx4 v[36:39], v36, s[0:1] offset:352
	v_lshl_add_u64 v[44:45], s[0:1], 0, v[56:57]
	v_sub_co_u32_e64 v44, s[0:1], v44, v77
	v_lshl_add_u32 v77, v76, 3, v159
	s_nop 0
	v_subbrev_co_u32_e64 v45, s[0:1], 0, v45, s[0:1]
	global_load_dwordx4 v[44:47], v[44:45], off offset:352
	ds_read2_b64 v[48:51], v93 offset0:88 offset1:99
	ds_read2_b64 v[58:61], v93 offset0:22 offset1:33
	;; [unrolled: 1-line block ×3, first 2 shown]
	s_mov_b32 s0, 0x3f5db3d7
	s_add_u32 s8, s12, 0x528
	s_addc_u32 s9, s13, 0
	s_waitcnt vmcnt(4) lgkmcnt(2)
	v_pk_mul_f32 v[52:53], v[48:49], v[32:33] op_sel:[0,1]
	s_nop 0
	v_pk_fma_f32 v[110:111], v[48:49], v[32:33], v[52:53] op_sel:[0,0,1] op_sel_hi:[1,1,0] neg_lo:[0,0,1] neg_hi:[0,0,1]
	v_pk_fma_f32 v[48:49], v[48:49], v[32:33], v[52:53] op_sel:[0,0,1] op_sel_hi:[1,0,0]
	s_waitcnt vmcnt(2)
	v_pk_mul_f32 v[54:55], v[50:51], v[28:29] op_sel:[0,1]
	v_mov_b32_e32 v48, v35
	v_mov_b32_e32 v111, v49
	s_waitcnt lgkmcnt(0)
	v_pk_mul_f32 v[48:49], v[64:65], v[48:49] op_sel_hi:[1,0]
	v_pk_fma_f32 v[68:69], v[50:51], v[28:29], v[54:55] op_sel:[0,0,1] op_sel_hi:[1,1,0] neg_lo:[0,0,1] neg_hi:[0,0,1]
	v_pk_fma_f32 v[112:113], v[64:65], v[34:35], v[48:49] op_sel:[0,0,1] op_sel_hi:[1,1,0] neg_lo:[0,0,1] neg_hi:[0,0,1]
	v_pk_fma_f32 v[48:49], v[64:65], v[34:35], v[48:49] op_sel:[0,0,1] op_sel_hi:[1,0,0]
	v_pk_fma_f32 v[50:51], v[50:51], v[28:29], v[54:55] op_sel:[0,0,1] op_sel_hi:[1,0,0]
	v_mov_b32_e32 v113, v49
	v_pk_add_f32 v[48:49], v[110:111], v[112:113]
	v_pk_add_f32 v[52:53], v[110:111], v[112:113] neg_lo:[0,1] neg_hi:[0,1]
	v_pk_fma_f32 v[48:49], v[48:49], 0.5, v[60:61] op_sel_hi:[1,0,1] neg_lo:[1,0,0] neg_hi:[1,0,0]
	v_pk_mul_f32 v[52:53], v[52:53], s[0:1] op_sel_hi:[1,0]
	v_mov_b32_e32 v50, v31
	v_pk_add_f32 v[114:115], v[48:49], v[52:53] op_sel:[0,1] op_sel_hi:[1,0] neg_lo:[0,1] neg_hi:[0,1]
	v_pk_add_f32 v[116:117], v[48:49], v[52:53] op_sel:[0,1] op_sel_hi:[1,0]
	ds_read2_b64 v[64:67], v93 offset0:44 offset1:55
	ds_read_b64 v[52:53], v93 offset:1232
	v_mov_b32_e32 v69, v51
	v_mov_b32_e32 v56, v43
	;; [unrolled: 1-line block ×4, first 2 shown]
	s_waitcnt lgkmcnt(0)
	v_pk_mul_f32 v[50:51], v[52:53], v[50:51] op_sel_hi:[1,0]
	v_mov_b32_e32 v48, v114
	v_pk_fma_f32 v[54:55], v[52:53], v[30:31], v[50:51] op_sel:[0,0,1] op_sel_hi:[1,1,0] neg_lo:[0,0,1] neg_hi:[0,0,1]
	v_pk_fma_f32 v[50:51], v[52:53], v[30:31], v[50:51] op_sel:[0,0,1] op_sel_hi:[1,0,0]
	s_nop 0
	v_mov_b32_e32 v55, v51
	v_pk_add_f32 v[50:51], v[64:65], v[68:69]
	v_pk_add_f32 v[52:53], v[68:69], v[54:55]
	;; [unrolled: 1-line block ×3, first 2 shown]
	v_pk_add_f32 v[54:55], v[68:69], v[54:55] neg_lo:[0,1] neg_hi:[0,1]
	ds_read2_b64 v[68:71], v93 offset0:66 offset1:77
	ds_read2_b64 v[72:75], v93 offset1:11
	ds_read2_b64 v[106:109], v93 offset0:110 offset1:121
	v_pk_fma_f32 v[52:53], v[52:53], 0.5, v[64:65] op_sel_hi:[1,0,1] neg_lo:[1,0,0] neg_hi:[1,0,0]
	v_pk_mul_f32 v[54:55], v[54:55], s[0:1] op_sel_hi:[1,0]
	s_waitcnt lgkmcnt(2)
	v_pk_mul_f32 v[118:119], v[68:69], v[40:41] op_sel:[0,1]
	s_nop 0
	v_pk_fma_f32 v[120:121], v[68:69], v[40:41], v[118:119] op_sel:[0,0,1] op_sel_hi:[1,1,0] neg_lo:[0,0,1] neg_hi:[0,0,1]
	v_pk_fma_f32 v[68:69], v[68:69], v[40:41], v[118:119] op_sel:[0,0,1] op_sel_hi:[1,0,0]
	v_pk_add_f32 v[64:65], v[52:53], v[54:55] op_sel:[0,1] op_sel_hi:[1,0] neg_lo:[0,1] neg_hi:[0,1]
	v_mov_b32_e32 v121, v69
	s_waitcnt lgkmcnt(0)
	v_pk_mul_f32 v[68:69], v[108:109], v[56:57] op_sel_hi:[1,0]
	s_waitcnt vmcnt(1)
	v_mov_b32_e32 v56, v39
	v_pk_fma_f32 v[118:119], v[108:109], v[42:43], v[68:69] op_sel:[0,0,1] op_sel_hi:[1,1,0] neg_lo:[0,0,1] neg_hi:[0,0,1]
	v_pk_fma_f32 v[68:69], v[108:109], v[42:43], v[68:69] op_sel:[0,0,1] op_sel_hi:[1,0,0]
	v_pk_mul_f32 v[108:109], v[70:71], v[36:37] op_sel:[0,1]
	v_mov_b32_e32 v119, v69
	v_pk_fma_f32 v[122:123], v[70:71], v[36:37], v[108:109] op_sel:[0,0,1] op_sel_hi:[1,1,0] neg_lo:[0,0,1] neg_hi:[0,0,1]
	v_pk_fma_f32 v[70:71], v[70:71], v[36:37], v[108:109] op_sel:[0,0,1] op_sel_hi:[1,0,0]
	v_pk_add_f32 v[68:69], v[74:75], v[120:121]
	v_mov_b32_e32 v123, v71
	v_pk_mul_f32 v[70:71], v[62:63], v[56:57] op_sel_hi:[1,0]
	s_waitcnt vmcnt(0)
	v_mov_b32_e32 v56, v47
	v_pk_fma_f32 v[108:109], v[62:63], v[38:39], v[70:71] op_sel:[0,0,1] op_sel_hi:[1,1,0] neg_lo:[0,0,1] neg_hi:[0,0,1]
	v_pk_fma_f32 v[62:63], v[62:63], v[38:39], v[70:71] op_sel:[0,0,1] op_sel_hi:[1,0,0]
	v_pk_mul_f32 v[70:71], v[66:67], v[44:45] op_sel:[0,1]
	v_mov_b32_e32 v109, v63
	v_pk_fma_f32 v[124:125], v[66:67], v[44:45], v[70:71] op_sel:[0,0,1] op_sel_hi:[1,1,0] neg_lo:[0,0,1] neg_hi:[0,0,1]
	v_pk_fma_f32 v[66:67], v[66:67], v[44:45], v[70:71] op_sel:[0,0,1] op_sel_hi:[1,0,0]
	v_pk_add_f32 v[62:63], v[58:59], v[122:123]
	v_mov_b32_e32 v125, v67
	v_pk_mul_f32 v[66:67], v[106:107], v[56:57] op_sel_hi:[1,0]
	v_pk_add_f32 v[62:63], v[62:63], v[108:109]
	v_pk_fma_f32 v[70:71], v[106:107], v[46:47], v[66:67] op_sel:[0,0,1] op_sel_hi:[1,1,0] neg_lo:[0,0,1] neg_hi:[0,0,1]
	v_pk_fma_f32 v[66:67], v[106:107], v[46:47], v[66:67] op_sel:[0,0,1] op_sel_hi:[1,0,0]
	v_pk_add_f32 v[68:69], v[68:69], v[118:119]
	v_mov_b32_e32 v71, v67
	v_pk_add_f32 v[66:67], v[124:125], v[70:71]
	v_pk_add_f32 v[106:107], v[124:125], v[70:71] neg_lo:[0,1] neg_hi:[0,1]
	v_pk_fma_f32 v[66:67], v[66:67], 0.5, v[72:73] op_sel_hi:[1,0,1] neg_lo:[1,0,0] neg_hi:[1,0,0]
	v_pk_add_f32 v[72:73], v[72:73], v[124:125]
	v_pk_mul_f32 v[106:107], v[106:107], s[0:1] op_sel_hi:[1,0]
	v_pk_add_f32 v[70:71], v[72:73], v[70:71]
	v_pk_add_f32 v[72:73], v[120:121], v[118:119]
	v_pk_add_f32 v[126:127], v[66:67], v[106:107] op_sel:[0,1] op_sel_hi:[1,0]
	v_pk_fma_f32 v[72:73], v[72:73], 0.5, v[74:75] op_sel_hi:[1,0,1] neg_lo:[1,0,0] neg_hi:[1,0,0]
	v_pk_add_f32 v[74:75], v[120:121], v[118:119] neg_lo:[0,1] neg_hi:[0,1]
	v_pk_add_f32 v[66:67], v[66:67], v[106:107] op_sel:[0,1] op_sel_hi:[1,0] neg_lo:[0,1] neg_hi:[0,1]
	v_pk_mul_f32 v[74:75], v[74:75], s[0:1] op_sel_hi:[1,0]
	ds_write_b64 v93, v[70:71]
	v_pk_add_f32 v[106:107], v[72:73], v[74:75] op_sel:[0,1] op_sel_hi:[1,0]
	v_pk_add_f32 v[72:73], v[72:73], v[74:75] op_sel:[0,1] op_sel_hi:[1,0] neg_lo:[0,1] neg_hi:[0,1]
	v_mov_b32_e32 v70, v126
	v_mov_b32_e32 v71, v67
	;; [unrolled: 1-line block ×6, first 2 shown]
	ds_write2_b64 v77, v[70:71], v[74:75] offset0:55 offset1:66
	ds_write2_b64 v77, v[66:67], v[72:73] offset0:110 offset1:121
	ds_write2_b64 v77, v[68:69], v[62:63] offset0:11 offset1:22
	v_pk_add_f32 v[62:63], v[122:123], v[108:109]
	v_pk_add_f32 v[52:53], v[52:53], v[54:55] op_sel:[0,1] op_sel_hi:[1,0]
	v_pk_fma_f32 v[58:59], v[62:63], 0.5, v[58:59] op_sel_hi:[1,0,1] neg_lo:[1,0,0] neg_hi:[1,0,0]
	v_pk_add_f32 v[62:63], v[122:123], v[108:109] neg_lo:[0,1] neg_hi:[0,1]
	v_mov_b32_e32 v55, v53
	v_pk_mul_f32 v[62:63], v[62:63], s[0:1] op_sel_hi:[1,0]
	v_mov_b32_e32 v53, v65
	v_pk_add_f32 v[66:67], v[58:59], v[62:63] op_sel:[0,1] op_sel_hi:[1,0]
	v_pk_add_f32 v[58:59], v[58:59], v[62:63] op_sel:[0,1] op_sel_hi:[1,0] neg_lo:[0,1] neg_hi:[0,1]
	v_mov_b32_e32 v62, v66
	v_mov_b32_e32 v63, v59
	v_mov_b32_e32 v59, v67
	ds_write_b64 v93, v[58:59] offset:1056
	v_pk_add_f32 v[58:59], v[60:61], v[110:111]
	v_mov_b32_e32 v54, v64
	v_pk_add_f32 v[58:59], v[58:59], v[112:113]
	ds_write_b64 v93, v[62:63] offset:616
	ds_write_b64 v77, v[58:59] offset:264
	;; [unrolled: 1-line block ×7, first 2 shown]
	s_waitcnt lgkmcnt(0)
	; wave barrier
	s_waitcnt lgkmcnt(0)
	global_load_dwordx2 v[62:63], v[78:79], off offset:1320
	v_lshlrev_b32_e32 v56, 3, v76
	global_load_dwordx2 v[66:67], v56, s[8:9] offset:120
	global_load_dwordx2 v[68:69], v56, s[8:9] offset:240
	;; [unrolled: 1-line block ×10, first 2 shown]
	ds_read2_b64 v[58:61], v93 offset1:15
	s_waitcnt vmcnt(10) lgkmcnt(0)
	v_mul_f32_e32 v64, v59, v63
	v_mul_f32_e32 v117, v58, v63
	v_fma_f32 v116, v58, v62, -v64
	v_fmac_f32_e32 v117, v59, v62
	ds_read2_b64 v[62:65], v93 offset0:30 offset1:45
	s_waitcnt vmcnt(9)
	v_mul_f32_e32 v58, v61, v67
	v_mul_f32_e32 v59, v60, v67
	v_fma_f32 v58, v60, v66, -v58
	v_fmac_f32_e32 v59, v61, v66
	ds_write2_b64 v93, v[116:117], v[58:59] offset1:15
	s_waitcnt vmcnt(8) lgkmcnt(1)
	v_mul_f32_e32 v58, v63, v69
	v_fma_f32 v66, v62, v68, -v58
	ds_read2_b64 v[58:61], v93 offset0:60 offset1:75
	v_mul_f32_e32 v67, v62, v69
	v_fmac_f32_e32 v67, v63, v68
	s_waitcnt vmcnt(7)
	v_mul_f32_e32 v62, v65, v71
	v_mul_f32_e32 v63, v64, v71
	v_fma_f32 v62, v64, v70, -v62
	v_fmac_f32_e32 v63, v65, v70
	ds_write2_b64 v93, v[66:67], v[62:63] offset0:30 offset1:45
	s_waitcnt vmcnt(6) lgkmcnt(1)
	v_mul_f32_e32 v62, v59, v73
	v_fma_f32 v66, v58, v72, -v62
	ds_read2_b64 v[62:65], v93 offset0:90 offset1:105
	v_mul_f32_e32 v67, v58, v73
	v_fmac_f32_e32 v67, v59, v72
	s_waitcnt vmcnt(5)
	v_mul_f32_e32 v58, v61, v75
	v_mul_f32_e32 v59, v60, v75
	v_fma_f32 v58, v60, v74, -v58
	v_fmac_f32_e32 v59, v61, v74
	ds_write2_b64 v93, v[66:67], v[58:59] offset0:60 offset1:75
	;; [unrolled: 12-line block ×3, first 2 shown]
	s_waitcnt vmcnt(2) lgkmcnt(1)
	v_mul_f32_e32 v62, v59, v111
	v_mul_f32_e32 v63, v58, v111
	v_fma_f32 v62, v58, v110, -v62
	v_fmac_f32_e32 v63, v59, v110
	ds_read_b64 v[58:59], v93 offset:1200
	s_waitcnt vmcnt(1)
	v_mul_f32_e32 v64, v61, v113
	v_mul_f32_e32 v65, v60, v113
	v_fma_f32 v64, v60, v112, -v64
	v_fmac_f32_e32 v65, v61, v112
	s_waitcnt vmcnt(0) lgkmcnt(0)
	v_mul_f32_e32 v60, v59, v115
	v_mul_f32_e32 v61, v58, v115
	v_fma_f32 v60, v58, v114, -v60
	v_fmac_f32_e32 v61, v59, v114
	ds_write2_b64 v93, v[62:63], v[64:65] offset0:120 offset1:135
	ds_write_b64 v93, v[60:61] offset:1200
	s_and_saveexec_b64 s[0:1], vcc
	s_cbranch_execz .LBB0_9
; %bb.8:
	v_lshl_add_u64 v[56:57], s[8:9], 0, v[56:57]
	global_load_dwordx2 v[106:107], v[56:57], off offset:88
	global_load_dwordx2 v[108:109], v[56:57], off offset:208
	global_load_dwordx2 v[110:111], v[56:57], off offset:328
	global_load_dwordx2 v[112:113], v[56:57], off offset:448
	global_load_dwordx2 v[114:115], v[56:57], off offset:568
	global_load_dwordx2 v[116:117], v[56:57], off offset:688
	global_load_dwordx2 v[118:119], v[56:57], off offset:808
	global_load_dwordx2 v[120:121], v[56:57], off offset:928
	global_load_dwordx2 v[122:123], v[56:57], off offset:1048
	global_load_dwordx2 v[124:125], v[56:57], off offset:1168
	global_load_dwordx2 v[126:127], v[56:57], off offset:1288
	ds_read2_b64 v[56:59], v77 offset0:11 offset1:26
	ds_read2_b64 v[60:63], v77 offset0:41 offset1:56
	;; [unrolled: 1-line block ×5, first 2 shown]
	ds_read_b64 v[128:129], v77 offset:1288
	s_waitcnt vmcnt(10) lgkmcnt(5)
	v_mul_f32_e32 v130, v57, v107
	v_mul_f32_e32 v131, v56, v107
	s_waitcnt vmcnt(9)
	v_mul_f32_e32 v132, v59, v109
	v_mul_f32_e32 v107, v58, v109
	s_waitcnt vmcnt(8) lgkmcnt(4)
	v_mul_f32_e32 v133, v61, v111
	v_mul_f32_e32 v109, v60, v111
	s_waitcnt vmcnt(7)
	v_mul_f32_e32 v134, v63, v113
	v_mul_f32_e32 v111, v62, v113
	;; [unrolled: 6-line block ×5, first 2 shown]
	s_waitcnt vmcnt(0) lgkmcnt(0)
	v_mul_f32_e32 v141, v129, v127
	v_mul_f32_e32 v125, v128, v127
	v_fma_f32 v130, v56, v106, -v130
	v_fmac_f32_e32 v131, v57, v106
	v_fma_f32 v106, v58, v108, -v132
	v_fmac_f32_e32 v107, v59, v108
	;; [unrolled: 2-line block ×11, first 2 shown]
	ds_write2_b64 v77, v[130:131], v[106:107] offset0:11 offset1:26
	ds_write2_b64 v77, v[108:109], v[110:111] offset0:41 offset1:56
	;; [unrolled: 1-line block ×5, first 2 shown]
	ds_write_b64 v77, v[124:125] offset:1288
.LBB0_9:
	s_or_b64 exec, exec, s[0:1]
	s_waitcnt lgkmcnt(0)
	; wave barrier
	s_waitcnt lgkmcnt(0)
	ds_read2_b64 v[56:59], v93 offset1:15
	ds_read2_b64 v[68:71], v93 offset0:30 offset1:45
	ds_read2_b64 v[60:63], v93 offset0:60 offset1:75
	;; [unrolled: 1-line block ×4, first 2 shown]
	ds_read_b64 v[142:143], v93 offset:1200
	s_and_saveexec_b64 s[0:1], vcc
	s_cbranch_execz .LBB0_11
; %bb.10:
	ds_read2_b64 v[48:51], v77 offset0:11 offset1:26
	ds_read2_b64 v[52:55], v77 offset0:41 offset1:56
	;; [unrolled: 1-line block ×5, first 2 shown]
	ds_read_b64 v[104:105], v77 offset:1288
.LBB0_11:
	s_or_b64 exec, exec, s[0:1]
	s_waitcnt lgkmcnt(5)
	v_pk_add_f32 v[150:151], v[56:57], v[58:59]
	s_waitcnt lgkmcnt(0)
	v_pk_add_f32 v[154:155], v[58:59], v[142:143] neg_lo:[0,1] neg_hi:[0,1]
	v_pk_add_f32 v[150:151], v[150:151], v[68:69]
	s_mov_b32 s14, 0xbf0a6770
	v_pk_add_f32 v[150:151], v[150:151], v[70:71]
	v_pk_add_f32 v[152:153], v[142:143], v[58:59]
	;; [unrolled: 1-line block ×3, first 2 shown]
	s_mov_b32 s0, 0x3f575c64
	v_pk_add_f32 v[150:151], v[150:151], v[62:63]
	v_pk_add_f32 v[164:165], v[68:69], v[74:75] neg_lo:[0,1] neg_hi:[0,1]
	v_pk_add_f32 v[150:151], v[150:151], v[64:65]
	s_mov_b32 s30, 0xbf68dda4
	v_pk_add_f32 v[150:151], v[150:151], v[66:67]
	v_pk_add_f32 v[162:163], v[74:75], v[68:69]
	;; [unrolled: 1-line block ×3, first 2 shown]
	s_mov_b32 s8, 0x3ed4b147
	v_pk_add_f32 v[150:151], v[150:151], v[74:75]
	v_pk_mul_f32 v[74:75], v[164:165], s[30:31] op_sel_hi:[1,0]
	v_pk_add_f32 v[150:151], v[150:151], v[142:143]
	v_pk_mul_f32 v[142:143], v[154:155], s[14:15] op_sel_hi:[1,0]
	v_pk_fma_f32 v[68:69], v[162:163], s[8:9], v[74:75] op_sel:[0,0,1] op_sel_hi:[1,0,0]
	v_pk_fma_f32 v[58:59], v[152:153], s[0:1], v[142:143] op_sel:[0,0,1] op_sel_hi:[1,0,0]
	v_pk_fma_f32 v[142:143], v[152:153], s[0:1], v[142:143] op_sel:[0,0,1] op_sel_hi:[1,0,0] neg_lo:[0,0,1] neg_hi:[0,0,1]
	v_mov_b32_e32 v156, v58
	v_mov_b32_e32 v157, v143
	v_pk_fma_f32 v[74:75], v[162:163], s[8:9], v[74:75] op_sel:[0,0,1] op_sel_hi:[1,0,0] neg_lo:[0,0,1] neg_hi:[0,0,1]
	v_pk_add_f32 v[156:157], v[56:57], v[156:157]
	v_mov_b32_e32 v166, v68
	v_mov_b32_e32 v167, v75
	v_pk_add_f32 v[168:169], v[70:71], v[72:73] neg_lo:[0,1] neg_hi:[0,1]
	s_mov_b32 s12, 0xbf7d64f0
	v_pk_add_f32 v[156:157], v[166:167], v[156:157]
	v_pk_add_f32 v[166:167], v[72:73], v[70:71]
	s_mov_b32 s10, 0xbe11bafb
	v_pk_mul_f32 v[72:73], v[168:169], s[12:13] op_sel_hi:[1,0]
	v_pk_add_f32 v[172:173], v[60:61], v[66:67] neg_lo:[0,1] neg_hi:[0,1]
	v_pk_fma_f32 v[70:71], v[166:167], s[10:11], v[72:73] op_sel:[0,0,1] op_sel_hi:[1,0,0]
	v_pk_fma_f32 v[72:73], v[166:167], s[10:11], v[72:73] op_sel:[0,0,1] op_sel_hi:[1,0,0] neg_lo:[0,0,1] neg_hi:[0,0,1]
	v_mov_b32_e32 v170, v70
	v_mov_b32_e32 v171, v73
	s_mov_b32 s18, 0xbf4178ce
	v_pk_add_f32 v[156:157], v[170:171], v[156:157]
	v_pk_add_f32 v[170:171], v[66:67], v[60:61]
	s_mov_b32 s16, 0xbf27a4f4
	v_pk_mul_f32 v[66:67], v[172:173], s[18:19] op_sel_hi:[1,0]
	s_mov_b32 s22, 0xbe903f40
	v_pk_fma_f32 v[60:61], v[170:171], s[16:17], v[66:67] op_sel:[0,0,1] op_sel_hi:[1,0,0]
	v_pk_fma_f32 v[66:67], v[170:171], s[16:17], v[66:67] op_sel:[0,0,1] op_sel_hi:[1,0,0] neg_lo:[0,0,1] neg_hi:[0,0,1]
	v_mov_b32_e32 v174, v60
	v_mov_b32_e32 v175, v67
	v_pk_add_f32 v[156:157], v[174:175], v[156:157]
	v_pk_add_f32 v[174:175], v[64:65], v[62:63]
	v_pk_add_f32 v[62:63], v[62:63], v[64:65] neg_lo:[0,1] neg_hi:[0,1]
	s_mov_b32 s20, 0xbf75a155
	v_pk_mul_f32 v[64:65], v[62:63], s[22:23] op_sel_hi:[1,0]
	s_nop 0
	v_pk_fma_f32 v[176:177], v[174:175], s[20:21], v[64:65] op_sel:[0,0,1] op_sel_hi:[1,0,0]
	v_pk_fma_f32 v[64:65], v[174:175], s[20:21], v[64:65] op_sel:[0,0,1] op_sel_hi:[1,0,0] neg_lo:[0,0,1] neg_hi:[0,0,1]
	v_mov_b32_e32 v178, v176
	v_mov_b32_e32 v179, v65
	v_pk_add_f32 v[156:157], v[178:179], v[156:157]
	; wave barrier
	ds_write2_b64 v160, v[150:151], v[156:157] offset1:1
	v_pk_mul_f32 v[150:151], v[154:155], s[30:31] op_sel_hi:[1,0]
	v_pk_mul_f32 v[180:181], v[164:165], s[18:19] op_sel_hi:[1,0]
	v_pk_fma_f32 v[156:157], v[152:153], s[8:9], v[150:151] op_sel:[0,0,1] op_sel_hi:[1,0,0]
	v_pk_fma_f32 v[150:151], v[152:153], s[8:9], v[150:151] op_sel:[0,0,1] op_sel_hi:[1,0,0] neg_lo:[0,0,1] neg_hi:[0,0,1]
	v_mov_b32_e32 v178, v156
	v_mov_b32_e32 v179, v151
	v_pk_fma_f32 v[182:183], v[162:163], s[16:17], v[180:181] op_sel:[0,0,1] op_sel_hi:[1,0,0]
	v_pk_fma_f32 v[180:181], v[162:163], s[16:17], v[180:181] op_sel:[0,0,1] op_sel_hi:[1,0,0] neg_lo:[0,0,1] neg_hi:[0,0,1]
	v_pk_add_f32 v[178:179], v[56:57], v[178:179]
	v_mov_b32_e32 v184, v182
	v_mov_b32_e32 v185, v181
	s_mov_b32 s34, 0x3e903f40
	v_pk_add_f32 v[178:179], v[184:185], v[178:179]
	v_pk_mul_f32 v[184:185], v[168:169], s[34:35] op_sel_hi:[1,0]
	s_mov_b32 s28, 0x3f7d64f0
	v_pk_fma_f32 v[186:187], v[166:167], s[20:21], v[184:185] op_sel:[0,0,1] op_sel_hi:[1,0,0]
	v_pk_fma_f32 v[184:185], v[166:167], s[20:21], v[184:185] op_sel:[0,0,1] op_sel_hi:[1,0,0] neg_lo:[0,0,1] neg_hi:[0,0,1]
	v_mov_b32_e32 v188, v186
	v_mov_b32_e32 v189, v185
	v_pk_add_f32 v[178:179], v[188:189], v[178:179]
	v_pk_mul_f32 v[188:189], v[172:173], s[28:29] op_sel_hi:[1,0]
	s_mov_b32 s24, 0x3f0a6770
	v_pk_fma_f32 v[190:191], v[170:171], s[10:11], v[188:189] op_sel:[0,0,1] op_sel_hi:[1,0,0]
	v_pk_fma_f32 v[188:189], v[170:171], s[10:11], v[188:189] op_sel:[0,0,1] op_sel_hi:[1,0,0] neg_lo:[0,0,1] neg_hi:[0,0,1]
	v_mov_b32_e32 v192, v190
	v_mov_b32_e32 v193, v189
	v_pk_add_f32 v[178:179], v[192:193], v[178:179]
	v_pk_mul_f32 v[192:193], v[62:63], s[24:25] op_sel_hi:[1,0]
	v_pk_mul_f32 v[202:203], v[164:165], s[34:35] op_sel_hi:[1,0]
	v_pk_fma_f32 v[194:195], v[174:175], s[0:1], v[192:193] op_sel:[0,0,1] op_sel_hi:[1,0,0]
	v_pk_fma_f32 v[192:193], v[174:175], s[0:1], v[192:193] op_sel:[0,0,1] op_sel_hi:[1,0,0] neg_lo:[0,0,1] neg_hi:[0,0,1]
	v_mov_b32_e32 v196, v194
	v_mov_b32_e32 v197, v193
	v_pk_add_f32 v[178:179], v[196:197], v[178:179]
	v_pk_mul_f32 v[196:197], v[154:155], s[12:13] op_sel_hi:[1,0]
	v_pk_fma_f32 v[204:205], v[162:163], s[20:21], v[202:203] op_sel:[0,0,1] op_sel_hi:[1,0,0]
	v_pk_fma_f32 v[198:199], v[152:153], s[10:11], v[196:197] op_sel:[0,0,1] op_sel_hi:[1,0,0]
	v_pk_fma_f32 v[196:197], v[152:153], s[10:11], v[196:197] op_sel:[0,0,1] op_sel_hi:[1,0,0] neg_lo:[0,0,1] neg_hi:[0,0,1]
	v_mov_b32_e32 v200, v198
	v_mov_b32_e32 v201, v197
	v_pk_fma_f32 v[202:203], v[162:163], s[20:21], v[202:203] op_sel:[0,0,1] op_sel_hi:[1,0,0] neg_lo:[0,0,1] neg_hi:[0,0,1]
	v_pk_add_f32 v[200:201], v[56:57], v[200:201]
	v_mov_b32_e32 v206, v204
	v_mov_b32_e32 v207, v203
	v_pk_add_f32 v[200:201], v[206:207], v[200:201]
	v_pk_mul_f32 v[206:207], v[168:169], s[26:27] op_sel_hi:[1,0]
	v_pk_mul_f32 v[220:221], v[164:165], s[28:29] op_sel_hi:[1,0]
	v_pk_fma_f32 v[208:209], v[166:167], s[8:9], v[206:207] op_sel:[0,0,1] op_sel_hi:[1,0,0]
	v_pk_fma_f32 v[206:207], v[166:167], s[8:9], v[206:207] op_sel:[0,0,1] op_sel_hi:[1,0,0] neg_lo:[0,0,1] neg_hi:[0,0,1]
	v_mov_b32_e32 v210, v208
	v_mov_b32_e32 v211, v207
	v_pk_add_f32 v[200:201], v[210:211], v[200:201]
	v_pk_mul_f32 v[210:211], v[172:173], s[14:15] op_sel_hi:[1,0]
	v_pk_fma_f32 v[222:223], v[162:163], s[10:11], v[220:221] op_sel:[0,0,1] op_sel_hi:[1,0,0]
	v_pk_fma_f32 v[212:213], v[170:171], s[0:1], v[210:211] op_sel:[0,0,1] op_sel_hi:[1,0,0]
	v_pk_fma_f32 v[210:211], v[170:171], s[0:1], v[210:211] op_sel:[0,0,1] op_sel_hi:[1,0,0] neg_lo:[0,0,1] neg_hi:[0,0,1]
	v_mov_b32_e32 v214, v212
	v_mov_b32_e32 v215, v211
	v_pk_add_f32 v[200:201], v[214:215], v[200:201]
	v_pk_mul_f32 v[214:215], v[62:63], s[18:19] op_sel_hi:[1,0]
	v_pk_fma_f32 v[220:221], v[162:163], s[10:11], v[220:221] op_sel:[0,0,1] op_sel_hi:[1,0,0] neg_lo:[0,0,1] neg_hi:[0,0,1]
	v_pk_fma_f32 v[216:217], v[174:175], s[16:17], v[214:215] op_sel:[0,0,1] op_sel_hi:[1,0,0]
	v_pk_fma_f32 v[214:215], v[174:175], s[16:17], v[214:215] op_sel:[0,0,1] op_sel_hi:[1,0,0] neg_lo:[0,0,1] neg_hi:[0,0,1]
	v_mov_b32_e32 v218, v216
	v_mov_b32_e32 v219, v215
	v_pk_add_f32 v[200:201], v[218:219], v[200:201]
	ds_write2_b64 v160, v[178:179], v[200:201] offset0:2 offset1:3
	v_pk_mul_f32 v[178:179], v[154:155], s[18:19] op_sel_hi:[1,0]
	v_mov_b32_e32 v224, v222
	v_pk_fma_f32 v[200:201], v[152:153], s[16:17], v[178:179] op_sel:[0,0,1] op_sel_hi:[1,0,0]
	v_pk_fma_f32 v[178:179], v[152:153], s[16:17], v[178:179] op_sel:[0,0,1] op_sel_hi:[1,0,0] neg_lo:[0,0,1] neg_hi:[0,0,1]
	v_mov_b32_e32 v218, v200
	v_mov_b32_e32 v219, v179
	v_pk_add_f32 v[218:219], v[56:57], v[218:219]
	v_mov_b32_e32 v225, v221
	v_pk_add_f32 v[218:219], v[224:225], v[218:219]
	v_pk_mul_f32 v[224:225], v[168:169], s[14:15] op_sel_hi:[1,0]
	v_pk_mul_f32 v[154:155], v[154:155], s[22:23] op_sel_hi:[1,0]
	v_pk_fma_f32 v[226:227], v[166:167], s[0:1], v[224:225] op_sel:[0,0,1] op_sel_hi:[1,0,0]
	v_pk_fma_f32 v[224:225], v[166:167], s[0:1], v[224:225] op_sel:[0,0,1] op_sel_hi:[1,0,0] neg_lo:[0,0,1] neg_hi:[0,0,1]
	v_mov_b32_e32 v228, v226
	v_mov_b32_e32 v229, v225
	v_pk_add_f32 v[218:219], v[228:229], v[218:219]
	v_pk_mul_f32 v[228:229], v[172:173], s[22:23] op_sel_hi:[1,0]
	v_pk_mul_f32 v[164:165], v[164:165], s[24:25] op_sel_hi:[1,0]
	v_pk_fma_f32 v[230:231], v[170:171], s[20:21], v[228:229] op_sel:[0,0,1] op_sel_hi:[1,0,0]
	v_pk_fma_f32 v[228:229], v[170:171], s[20:21], v[228:229] op_sel:[0,0,1] op_sel_hi:[1,0,0] neg_lo:[0,0,1] neg_hi:[0,0,1]
	v_mov_b32_e32 v232, v230
	v_mov_b32_e32 v233, v229
	v_pk_add_f32 v[218:219], v[232:233], v[218:219]
	v_pk_mul_f32 v[232:233], v[62:63], s[26:27] op_sel_hi:[1,0]
	v_pk_fma_f32 v[238:239], v[162:163], s[0:1], v[164:165] op_sel:[0,0,1] op_sel_hi:[1,0,0]
	v_pk_fma_f32 v[234:235], v[174:175], s[8:9], v[232:233] op_sel:[0,0,1] op_sel_hi:[1,0,0]
	v_pk_fma_f32 v[232:233], v[174:175], s[8:9], v[232:233] op_sel:[0,0,1] op_sel_hi:[1,0,0] neg_lo:[0,0,1] neg_hi:[0,0,1]
	v_mov_b32_e32 v236, v234
	v_mov_b32_e32 v237, v233
	v_pk_add_f32 v[218:219], v[236:237], v[218:219]
	v_pk_fma_f32 v[236:237], v[152:153], s[20:21], v[154:155] op_sel:[0,0,1] op_sel_hi:[1,0,0]
	v_pk_fma_f32 v[152:153], v[152:153], s[20:21], v[154:155] op_sel:[0,0,1] op_sel_hi:[1,0,0] neg_lo:[0,0,1] neg_hi:[0,0,1]
	v_mov_b32_e32 v154, v236
	v_mov_b32_e32 v155, v153
	v_pk_fma_f32 v[162:163], v[162:163], s[0:1], v[164:165] op_sel:[0,0,1] op_sel_hi:[1,0,0] neg_lo:[0,0,1] neg_hi:[0,0,1]
	v_pk_add_f32 v[154:155], v[56:57], v[154:155]
	v_mov_b32_e32 v164, v238
	v_mov_b32_e32 v165, v163
	v_pk_add_f32 v[154:155], v[164:165], v[154:155]
	v_pk_mul_f32 v[164:165], v[168:169], s[18:19] op_sel_hi:[1,0]
	v_mov_b32_e32 v153, v237
	v_pk_fma_f32 v[168:169], v[166:167], s[16:17], v[164:165] op_sel:[0,0,1] op_sel_hi:[1,0,0]
	v_pk_fma_f32 v[164:165], v[166:167], s[16:17], v[164:165] op_sel:[0,0,1] op_sel_hi:[1,0,0] neg_lo:[0,0,1] neg_hi:[0,0,1]
	v_mov_b32_e32 v166, v168
	v_mov_b32_e32 v167, v165
	v_pk_add_f32 v[154:155], v[166:167], v[154:155]
	v_pk_mul_f32 v[166:167], v[172:173], s[26:27] op_sel_hi:[1,0]
	v_pk_add_f32 v[152:153], v[56:57], v[152:153]
	v_pk_fma_f32 v[172:173], v[170:171], s[8:9], v[166:167] op_sel:[0,0,1] op_sel_hi:[1,0,0]
	v_pk_fma_f32 v[166:167], v[170:171], s[8:9], v[166:167] op_sel:[0,0,1] op_sel_hi:[1,0,0] neg_lo:[0,0,1] neg_hi:[0,0,1]
	v_mov_b32_e32 v163, v239
	v_mov_b32_e32 v170, v172
	;; [unrolled: 1-line block ×3, first 2 shown]
	v_pk_mul_f32 v[62:63], v[62:63], s[12:13] op_sel_hi:[1,0]
	v_pk_add_f32 v[152:153], v[162:163], v[152:153]
	v_mov_b32_e32 v165, v169
	v_pk_add_f32 v[154:155], v[170:171], v[154:155]
	v_pk_fma_f32 v[170:171], v[174:175], s[10:11], v[62:63] op_sel:[0,0,1] op_sel_hi:[1,0,0]
	v_pk_fma_f32 v[62:63], v[174:175], s[10:11], v[62:63] op_sel:[0,0,1] op_sel_hi:[1,0,0] neg_lo:[0,0,1] neg_hi:[0,0,1]
	v_pk_add_f32 v[152:153], v[164:165], v[152:153]
	v_mov_b32_e32 v167, v173
	v_mov_b32_e32 v175, v63
	v_pk_add_f32 v[152:153], v[166:167], v[152:153]
	v_mov_b32_e32 v63, v171
	v_mov_b32_e32 v179, v201
	v_pk_add_f32 v[62:63], v[62:63], v[152:153]
	v_pk_add_f32 v[152:153], v[56:57], v[178:179]
	v_mov_b32_e32 v221, v223
	v_pk_add_f32 v[152:153], v[220:221], v[152:153]
	v_mov_b32_e32 v225, v227
	;; [unrolled: 2-line block ×5, first 2 shown]
	v_mov_b32_e32 v151, v157
	v_mov_b32_e32 v143, v59
	ds_write2_b64 v160, v[62:63], v[152:153] offset0:6 offset1:7
	v_pk_add_f32 v[62:63], v[56:57], v[196:197]
	v_mov_b32_e32 v203, v205
	v_pk_add_f32 v[150:151], v[56:57], v[150:151]
	v_mov_b32_e32 v181, v183
	v_pk_add_f32 v[56:57], v[56:57], v[142:143]
	v_mov_b32_e32 v75, v69
	v_pk_add_f32 v[62:63], v[202:203], v[62:63]
	v_mov_b32_e32 v207, v209
	v_pk_add_f32 v[150:151], v[180:181], v[150:151]
	v_mov_b32_e32 v185, v187
	v_pk_add_f32 v[56:57], v[74:75], v[56:57]
	v_mov_b32_e32 v73, v71
	v_pk_add_f32 v[62:63], v[206:207], v[62:63]
	v_mov_b32_e32 v211, v213
	v_pk_add_f32 v[150:151], v[184:185], v[150:151]
	v_mov_b32_e32 v189, v191
	v_pk_add_f32 v[56:57], v[72:73], v[56:57]
	v_mov_b32_e32 v67, v61
	v_mov_b32_e32 v174, v170
	v_pk_add_f32 v[62:63], v[210:211], v[62:63]
	v_mov_b32_e32 v215, v217
	v_pk_add_f32 v[150:151], v[188:189], v[150:151]
	;; [unrolled: 2-line block ×3, first 2 shown]
	v_mov_b32_e32 v65, v177
	v_mov_b32_e32 v132, v16
	v_mov_b32_e32 v133, v16
	v_mov_b32_e32 v16, v17
	v_mov_b32_e32 v130, v18
	v_mov_b32_e32 v131, v18
	v_mov_b32_e32 v18, v19
	v_mov_b32_e32 v128, v12
	v_mov_b32_e32 v129, v12
	v_mov_b32_e32 v12, v13
	v_mov_b32_e32 v126, v14
	v_mov_b32_e32 v127, v14
	v_mov_b32_e32 v14, v15
	v_mov_b32_e32 v140, v24
	v_mov_b32_e32 v141, v24
	v_mov_b32_e32 v24, v25
	v_mov_b32_e32 v138, v26
	v_mov_b32_e32 v139, v26
	v_mov_b32_e32 v26, v27
	v_mov_b32_e32 v136, v20
	v_mov_b32_e32 v137, v20
	v_mov_b32_e32 v20, v21
	v_mov_b32_e32 v134, v22
	v_mov_b32_e32 v135, v22
	v_mov_b32_e32 v22, v23
	v_mov_b32_e32 v112, v32
	v_mov_b32_e32 v113, v32
	v_mov_b32_e32 v32, v33
	v_mov_b32_e32 v110, v34
	v_mov_b32_e32 v111, v34
	v_mov_b32_e32 v34, v35
	v_mov_b32_e32 v108, v28
	v_mov_b32_e32 v109, v28
	v_mov_b32_e32 v28, v29
	v_mov_b32_e32 v106, v30
	v_mov_b32_e32 v107, v30
	v_mov_b32_e32 v30, v31
	v_mov_b32_e32 v120, v40
	v_mov_b32_e32 v121, v40
	v_mov_b32_e32 v40, v41
	v_mov_b32_e32 v118, v42
	v_mov_b32_e32 v119, v42
	v_mov_b32_e32 v42, v43
	v_mov_b32_e32 v116, v36
	v_mov_b32_e32 v117, v36
	v_mov_b32_e32 v36, v37
	v_mov_b32_e32 v114, v38
	v_mov_b32_e32 v115, v38
	v_mov_b32_e32 v38, v39
	v_mov_b32_e32 v124, v44
	v_mov_b32_e32 v125, v44
	v_mov_b32_e32 v44, v45
	v_mov_b32_e32 v122, v46
	v_mov_b32_e32 v123, v46
	v_mov_b32_e32 v46, v47
	v_add_u32_e32 v148, 0xb0, v93
	v_add_u32_e32 v147, 0x108, v93
	;; [unrolled: 1-line block ×3, first 2 shown]
	v_pk_add_f32 v[154:155], v[174:175], v[154:155]
	v_pk_add_f32 v[62:63], v[214:215], v[62:63]
	;; [unrolled: 1-line block ×4, first 2 shown]
	ds_write2_b64 v160, v[218:219], v[154:155] offset0:4 offset1:5
	ds_write2_b64 v160, v[62:63], v[150:151] offset0:8 offset1:9
	ds_write_b64 v160, v[56:57] offset:80
	s_and_saveexec_b64 s[36:37], vcc
	s_cbranch_execz .LBB0_13
; %bb.12:
	v_pk_add_f32 v[56:57], v[50:51], v[48:49]
	v_pk_add_f32 v[58:59], v[104:105], v[50:51]
	v_pk_add_f32 v[56:57], v[52:53], v[56:57]
	v_pk_add_f32 v[50:51], v[50:51], v[104:105] neg_lo:[0,1] neg_hi:[0,1]
	v_pk_add_f32 v[56:57], v[54:55], v[56:57]
	v_pk_add_f32 v[60:61], v[2:3], v[52:53]
	v_pk_add_f32 v[56:57], v[4:5], v[56:57]
	v_pk_add_f32 v[52:53], v[52:53], v[2:3] neg_lo:[0,1] neg_hi:[0,1]
	;; [unrolled: 4-line block ×4, first 2 shown]
	v_pk_add_f32 v[56:57], v[2:3], v[56:57]
	v_pk_mul_f32 v[2:3], v[50:51], s[14:15] op_sel_hi:[1,0]
	v_pk_add_f32 v[66:67], v[8:9], v[6:7]
	v_pk_fma_f32 v[0:1], v[58:59], s[0:1], v[2:3] op_sel:[0,0,1] op_sel_hi:[1,0,0]
	v_pk_fma_f32 v[2:3], v[58:59], s[0:1], v[2:3] op_sel:[0,0,1] op_sel_hi:[1,0,0] neg_lo:[0,0,1] neg_hi:[0,0,1]
	v_pk_add_f32 v[8:9], v[6:7], v[8:9] neg_lo:[0,1] neg_hi:[0,1]
	v_mov_b32_e32 v4, v0
	v_mov_b32_e32 v5, v3
	v_pk_mul_f32 v[6:7], v[52:53], s[30:31] op_sel_hi:[1,0]
	v_pk_add_f32 v[68:69], v[48:49], v[4:5]
	v_pk_fma_f32 v[4:5], v[60:61], s[8:9], v[6:7] op_sel:[0,0,1] op_sel_hi:[1,0,0]
	v_pk_fma_f32 v[6:7], v[60:61], s[8:9], v[6:7] op_sel:[0,0,1] op_sel_hi:[1,0,0] neg_lo:[0,0,1] neg_hi:[0,0,1]
	v_mov_b32_e32 v70, v4
	v_mov_b32_e32 v71, v7
	v_pk_add_f32 v[68:69], v[70:71], v[68:69]
	v_pk_mul_f32 v[70:71], v[54:55], s[12:13] op_sel_hi:[1,0]
	v_pk_add_f32 v[56:57], v[104:105], v[56:57]
	v_pk_fma_f32 v[72:73], v[62:63], s[10:11], v[70:71] op_sel:[0,0,1] op_sel_hi:[1,0,0]
	v_pk_fma_f32 v[70:71], v[62:63], s[10:11], v[70:71] op_sel:[0,0,1] op_sel_hi:[1,0,0] neg_lo:[0,0,1] neg_hi:[0,0,1]
	v_mov_b32_e32 v74, v72
	v_mov_b32_e32 v75, v71
	v_pk_add_f32 v[68:69], v[74:75], v[68:69]
	v_pk_mul_f32 v[74:75], v[10:11], s[18:19] op_sel_hi:[1,0]
	v_lshl_add_u32 v145, v145, 3, v159
	v_pk_fma_f32 v[104:105], v[64:65], s[16:17], v[74:75] op_sel:[0,0,1] op_sel_hi:[1,0,0]
	v_pk_fma_f32 v[74:75], v[64:65], s[16:17], v[74:75] op_sel:[0,0,1] op_sel_hi:[1,0,0] neg_lo:[0,0,1] neg_hi:[0,0,1]
	v_mov_b32_e32 v142, v104
	v_mov_b32_e32 v143, v75
	v_pk_add_f32 v[68:69], v[142:143], v[68:69]
	v_pk_mul_f32 v[142:143], v[8:9], s[22:23] op_sel_hi:[1,0]
	v_pk_mul_f32 v[154:155], v[52:53], s[18:19] op_sel_hi:[1,0]
	v_pk_fma_f32 v[150:151], v[66:67], s[20:21], v[142:143] op_sel:[0,0,1] op_sel_hi:[1,0,0]
	v_pk_fma_f32 v[142:143], v[66:67], s[20:21], v[142:143] op_sel:[0,0,1] op_sel_hi:[1,0,0] neg_lo:[0,0,1] neg_hi:[0,0,1]
	v_mov_b32_e32 v152, v150
	v_mov_b32_e32 v153, v143
	v_pk_add_f32 v[68:69], v[152:153], v[68:69]
	ds_write2_b64 v145, v[56:57], v[68:69] offset1:1
	v_pk_mul_f32 v[56:57], v[50:51], s[30:31] op_sel_hi:[1,0]
	v_pk_fma_f32 v[156:157], v[60:61], s[16:17], v[154:155] op_sel:[0,0,1] op_sel_hi:[1,0,0]
	v_pk_fma_f32 v[68:69], v[58:59], s[8:9], v[56:57] op_sel:[0,0,1] op_sel_hi:[1,0,0]
	v_pk_fma_f32 v[56:57], v[58:59], s[8:9], v[56:57] op_sel:[0,0,1] op_sel_hi:[1,0,0] neg_lo:[0,0,1] neg_hi:[0,0,1]
	v_mov_b32_e32 v152, v68
	v_mov_b32_e32 v153, v57
	v_pk_fma_f32 v[154:155], v[60:61], s[16:17], v[154:155] op_sel:[0,0,1] op_sel_hi:[1,0,0] neg_lo:[0,0,1] neg_hi:[0,0,1]
	v_pk_add_f32 v[152:153], v[48:49], v[152:153]
	v_mov_b32_e32 v160, v156
	v_mov_b32_e32 v161, v155
	v_pk_add_f32 v[152:153], v[160:161], v[152:153]
	v_pk_mul_f32 v[160:161], v[54:55], s[34:35] op_sel_hi:[1,0]
	v_pk_mul_f32 v[178:179], v[52:53], s[34:35] op_sel_hi:[1,0]
	v_pk_fma_f32 v[162:163], v[62:63], s[20:21], v[160:161] op_sel:[0,0,1] op_sel_hi:[1,0,0]
	v_pk_fma_f32 v[160:161], v[62:63], s[20:21], v[160:161] op_sel:[0,0,1] op_sel_hi:[1,0,0] neg_lo:[0,0,1] neg_hi:[0,0,1]
	v_mov_b32_e32 v164, v162
	v_mov_b32_e32 v165, v161
	v_pk_add_f32 v[152:153], v[164:165], v[152:153]
	v_pk_mul_f32 v[164:165], v[10:11], s[28:29] op_sel_hi:[1,0]
	v_pk_fma_f32 v[180:181], v[60:61], s[20:21], v[178:179] op_sel:[0,0,1] op_sel_hi:[1,0,0]
	v_pk_fma_f32 v[166:167], v[64:65], s[10:11], v[164:165] op_sel:[0,0,1] op_sel_hi:[1,0,0]
	v_pk_fma_f32 v[164:165], v[64:65], s[10:11], v[164:165] op_sel:[0,0,1] op_sel_hi:[1,0,0] neg_lo:[0,0,1] neg_hi:[0,0,1]
	v_mov_b32_e32 v168, v166
	v_mov_b32_e32 v169, v165
	v_pk_add_f32 v[152:153], v[168:169], v[152:153]
	v_pk_mul_f32 v[168:169], v[8:9], s[24:25] op_sel_hi:[1,0]
	v_pk_fma_f32 v[178:179], v[60:61], s[20:21], v[178:179] op_sel:[0,0,1] op_sel_hi:[1,0,0] neg_lo:[0,0,1] neg_hi:[0,0,1]
	v_pk_fma_f32 v[170:171], v[66:67], s[0:1], v[168:169] op_sel:[0,0,1] op_sel_hi:[1,0,0]
	v_pk_fma_f32 v[168:169], v[66:67], s[0:1], v[168:169] op_sel:[0,0,1] op_sel_hi:[1,0,0] neg_lo:[0,0,1] neg_hi:[0,0,1]
	v_mov_b32_e32 v172, v170
	v_mov_b32_e32 v173, v169
	v_pk_add_f32 v[152:153], v[172:173], v[152:153]
	v_pk_mul_f32 v[172:173], v[50:51], s[12:13] op_sel_hi:[1,0]
	v_mov_b32_e32 v182, v180
	v_pk_fma_f32 v[174:175], v[58:59], s[10:11], v[172:173] op_sel:[0,0,1] op_sel_hi:[1,0,0]
	v_pk_fma_f32 v[172:173], v[58:59], s[10:11], v[172:173] op_sel:[0,0,1] op_sel_hi:[1,0,0] neg_lo:[0,0,1] neg_hi:[0,0,1]
	v_mov_b32_e32 v176, v174
	v_mov_b32_e32 v177, v173
	v_pk_add_f32 v[176:177], v[48:49], v[176:177]
	v_mov_b32_e32 v183, v179
	v_pk_add_f32 v[176:177], v[182:183], v[176:177]
	v_pk_mul_f32 v[182:183], v[54:55], s[26:27] op_sel_hi:[1,0]
	v_pk_mul_f32 v[196:197], v[52:53], s[28:29] op_sel_hi:[1,0]
	v_pk_fma_f32 v[184:185], v[62:63], s[8:9], v[182:183] op_sel:[0,0,1] op_sel_hi:[1,0,0]
	v_pk_fma_f32 v[182:183], v[62:63], s[8:9], v[182:183] op_sel:[0,0,1] op_sel_hi:[1,0,0] neg_lo:[0,0,1] neg_hi:[0,0,1]
	v_mov_b32_e32 v186, v184
	v_mov_b32_e32 v187, v183
	v_pk_add_f32 v[176:177], v[186:187], v[176:177]
	v_pk_mul_f32 v[186:187], v[10:11], s[14:15] op_sel_hi:[1,0]
	v_pk_fma_f32 v[198:199], v[60:61], s[10:11], v[196:197] op_sel:[0,0,1] op_sel_hi:[1,0,0]
	v_pk_fma_f32 v[188:189], v[64:65], s[0:1], v[186:187] op_sel:[0,0,1] op_sel_hi:[1,0,0]
	v_pk_fma_f32 v[186:187], v[64:65], s[0:1], v[186:187] op_sel:[0,0,1] op_sel_hi:[1,0,0] neg_lo:[0,0,1] neg_hi:[0,0,1]
	v_mov_b32_e32 v190, v188
	v_mov_b32_e32 v191, v187
	v_pk_add_f32 v[176:177], v[190:191], v[176:177]
	v_pk_mul_f32 v[190:191], v[8:9], s[18:19] op_sel_hi:[1,0]
	v_pk_fma_f32 v[196:197], v[60:61], s[10:11], v[196:197] op_sel:[0,0,1] op_sel_hi:[1,0,0] neg_lo:[0,0,1] neg_hi:[0,0,1]
	v_pk_fma_f32 v[192:193], v[66:67], s[16:17], v[190:191] op_sel:[0,0,1] op_sel_hi:[1,0,0]
	v_pk_fma_f32 v[190:191], v[66:67], s[16:17], v[190:191] op_sel:[0,0,1] op_sel_hi:[1,0,0] neg_lo:[0,0,1] neg_hi:[0,0,1]
	v_mov_b32_e32 v194, v192
	v_mov_b32_e32 v195, v191
	v_pk_add_f32 v[176:177], v[194:195], v[176:177]
	ds_write2_b64 v145, v[152:153], v[176:177] offset0:2 offset1:3
	v_pk_mul_f32 v[152:153], v[50:51], s[18:19] op_sel_hi:[1,0]
	v_mov_b32_e32 v200, v198
	v_pk_fma_f32 v[176:177], v[58:59], s[16:17], v[152:153] op_sel:[0,0,1] op_sel_hi:[1,0,0]
	v_pk_fma_f32 v[152:153], v[58:59], s[16:17], v[152:153] op_sel:[0,0,1] op_sel_hi:[1,0,0] neg_lo:[0,0,1] neg_hi:[0,0,1]
	v_mov_b32_e32 v194, v176
	v_mov_b32_e32 v195, v153
	v_pk_add_f32 v[194:195], v[48:49], v[194:195]
	v_mov_b32_e32 v201, v197
	v_pk_add_f32 v[194:195], v[200:201], v[194:195]
	v_pk_mul_f32 v[200:201], v[54:55], s[14:15] op_sel_hi:[1,0]
	v_pk_mul_f32 v[50:51], v[50:51], s[22:23] op_sel_hi:[1,0]
	v_pk_fma_f32 v[202:203], v[62:63], s[0:1], v[200:201] op_sel:[0,0,1] op_sel_hi:[1,0,0]
	v_pk_fma_f32 v[200:201], v[62:63], s[0:1], v[200:201] op_sel:[0,0,1] op_sel_hi:[1,0,0] neg_lo:[0,0,1] neg_hi:[0,0,1]
	v_mov_b32_e32 v204, v202
	v_mov_b32_e32 v205, v201
	v_pk_add_f32 v[194:195], v[204:205], v[194:195]
	v_pk_mul_f32 v[204:205], v[10:11], s[22:23] op_sel_hi:[1,0]
	v_pk_mul_f32 v[52:53], v[52:53], s[24:25] op_sel_hi:[1,0]
	v_pk_fma_f32 v[206:207], v[64:65], s[20:21], v[204:205] op_sel:[0,0,1] op_sel_hi:[1,0,0]
	v_pk_fma_f32 v[204:205], v[64:65], s[20:21], v[204:205] op_sel:[0,0,1] op_sel_hi:[1,0,0] neg_lo:[0,0,1] neg_hi:[0,0,1]
	v_mov_b32_e32 v208, v206
	v_mov_b32_e32 v209, v205
	v_pk_add_f32 v[194:195], v[208:209], v[194:195]
	v_pk_mul_f32 v[208:209], v[8:9], s[26:27] op_sel_hi:[1,0]
	v_pk_fma_f32 v[214:215], v[60:61], s[0:1], v[52:53] op_sel:[0,0,1] op_sel_hi:[1,0,0]
	v_pk_fma_f32 v[210:211], v[66:67], s[8:9], v[208:209] op_sel:[0,0,1] op_sel_hi:[1,0,0]
	v_pk_fma_f32 v[208:209], v[66:67], s[8:9], v[208:209] op_sel:[0,0,1] op_sel_hi:[1,0,0] neg_lo:[0,0,1] neg_hi:[0,0,1]
	v_mov_b32_e32 v212, v210
	v_mov_b32_e32 v213, v209
	v_pk_add_f32 v[194:195], v[212:213], v[194:195]
	v_pk_fma_f32 v[212:213], v[58:59], s[20:21], v[50:51] op_sel:[0,0,1] op_sel_hi:[1,0,0]
	v_pk_fma_f32 v[50:51], v[58:59], s[20:21], v[50:51] op_sel:[0,0,1] op_sel_hi:[1,0,0] neg_lo:[0,0,1] neg_hi:[0,0,1]
	v_mov_b32_e32 v58, v212
	v_mov_b32_e32 v59, v51
	v_pk_fma_f32 v[52:53], v[60:61], s[0:1], v[52:53] op_sel:[0,0,1] op_sel_hi:[1,0,0] neg_lo:[0,0,1] neg_hi:[0,0,1]
	v_pk_add_f32 v[58:59], v[48:49], v[58:59]
	v_mov_b32_e32 v60, v214
	v_mov_b32_e32 v61, v53
	v_pk_mul_f32 v[54:55], v[54:55], s[18:19] op_sel_hi:[1,0]
	v_pk_add_f32 v[58:59], v[60:61], v[58:59]
	v_pk_fma_f32 v[60:61], v[62:63], s[16:17], v[54:55] op_sel:[0,0,1] op_sel_hi:[1,0,0]
	v_pk_fma_f32 v[54:55], v[62:63], s[16:17], v[54:55] op_sel:[0,0,1] op_sel_hi:[1,0,0] neg_lo:[0,0,1] neg_hi:[0,0,1]
	v_mov_b32_e32 v62, v60
	v_mov_b32_e32 v63, v55
	v_pk_mul_f32 v[10:11], v[10:11], s[26:27] op_sel_hi:[1,0]
	v_mov_b32_e32 v51, v213
	v_pk_add_f32 v[58:59], v[62:63], v[58:59]
	v_pk_fma_f32 v[62:63], v[64:65], s[8:9], v[10:11] op_sel:[0,0,1] op_sel_hi:[1,0,0]
	v_pk_fma_f32 v[10:11], v[64:65], s[8:9], v[10:11] op_sel:[0,0,1] op_sel_hi:[1,0,0] neg_lo:[0,0,1] neg_hi:[0,0,1]
	v_pk_add_f32 v[50:51], v[48:49], v[50:51]
	v_mov_b32_e32 v53, v215
	v_mov_b32_e32 v64, v62
	;; [unrolled: 1-line block ×3, first 2 shown]
	v_pk_mul_f32 v[8:9], v[8:9], s[12:13] op_sel_hi:[1,0]
	v_pk_add_f32 v[50:51], v[52:53], v[50:51]
	v_mov_b32_e32 v55, v61
	v_pk_add_f32 v[58:59], v[64:65], v[58:59]
	v_pk_fma_f32 v[64:65], v[66:67], s[10:11], v[8:9] op_sel:[0,0,1] op_sel_hi:[1,0,0]
	v_pk_fma_f32 v[8:9], v[66:67], s[10:11], v[8:9] op_sel:[0,0,1] op_sel_hi:[1,0,0] neg_lo:[0,0,1] neg_hi:[0,0,1]
	v_pk_add_f32 v[50:51], v[54:55], v[50:51]
	v_mov_b32_e32 v11, v63
	v_mov_b32_e32 v67, v9
	v_pk_add_f32 v[10:11], v[10:11], v[50:51]
	v_mov_b32_e32 v9, v65
	v_mov_b32_e32 v153, v177
	v_pk_add_f32 v[8:9], v[8:9], v[10:11]
	v_pk_add_f32 v[10:11], v[48:49], v[152:153]
	v_mov_b32_e32 v197, v199
	v_pk_add_f32 v[10:11], v[196:197], v[10:11]
	v_mov_b32_e32 v201, v203
	v_pk_add_f32 v[10:11], v[200:201], v[10:11]
	v_mov_b32_e32 v205, v207
	v_pk_add_f32 v[10:11], v[204:205], v[10:11]
	v_mov_b32_e32 v209, v211
	v_pk_add_f32 v[10:11], v[208:209], v[10:11]
	v_mov_b32_e32 v173, v175
	v_mov_b32_e32 v57, v69
	v_mov_b32_e32 v3, v1
	ds_write2_b64 v145, v[8:9], v[10:11] offset0:6 offset1:7
	v_pk_add_f32 v[8:9], v[48:49], v[172:173]
	v_mov_b32_e32 v179, v181
	v_pk_add_f32 v[10:11], v[48:49], v[56:57]
	v_mov_b32_e32 v155, v157
	;; [unrolled: 2-line block ×9, first 2 shown]
	v_mov_b32_e32 v66, v64
	v_pk_add_f32 v[8:9], v[186:187], v[8:9]
	v_mov_b32_e32 v191, v193
	v_pk_add_f32 v[10:11], v[164:165], v[10:11]
	;; [unrolled: 2-line block ×4, first 2 shown]
	v_pk_add_f32 v[8:9], v[190:191], v[8:9]
	v_pk_add_f32 v[10:11], v[168:169], v[10:11]
	;; [unrolled: 1-line block ×3, first 2 shown]
	ds_write2_b64 v145, v[194:195], v[58:59] offset0:4 offset1:5
	ds_write2_b64 v145, v[8:9], v[10:11] offset0:8 offset1:9
	ds_write_b64 v145, v[0:1] offset:80
.LBB0_13:
	s_or_b64 exec, exec, s[36:37]
	s_waitcnt lgkmcnt(0)
	; wave barrier
	s_waitcnt lgkmcnt(0)
	ds_read2_b64 v[2:5], v93 offset0:22 offset1:33
	ds_read2_b64 v[6:9], v93 offset1:11
	ds_read2_b64 v[48:51], v93 offset0:66 offset1:77
	ds_read2_b64 v[52:55], v93 offset0:88 offset1:99
	;; [unrolled: 1-line block ×3, first 2 shown]
	s_waitcnt lgkmcnt(4)
	v_pk_mul_f32 v[10:11], v[16:17], v[4:5]
	s_mov_b32 s0, 0x3f737871
	v_pk_fma_f32 v[60:61], v[132:133], v[4:5], v[10:11] op_sel:[0,0,1] op_sel_hi:[1,1,0]
	v_pk_fma_f32 v[4:5], v[132:133], v[4:5], v[10:11] op_sel:[0,0,1] op_sel_hi:[1,1,0] neg_lo:[0,0,1] neg_hi:[0,0,1]
	v_mov_b32_e32 v0, s2
	v_mov_b32_e32 v61, v5
	s_waitcnt lgkmcnt(2)
	v_pk_mul_f32 v[4:5], v[18:19], v[48:49]
	s_mov_b32 s2, 0x3f167918
	v_pk_fma_f32 v[10:11], v[130:131], v[48:49], v[4:5] op_sel:[0,0,1] op_sel_hi:[1,1,0]
	v_pk_fma_f32 v[4:5], v[130:131], v[48:49], v[4:5] op_sel:[0,0,1] op_sel_hi:[1,1,0] neg_lo:[0,0,1] neg_hi:[0,0,1]
	s_mov_b32 s8, 0x3e9e377a
	v_mov_b32_e32 v11, v5
	s_waitcnt lgkmcnt(1)
	v_pk_mul_f32 v[4:5], v[12:13], v[54:55]
	v_pk_add_f32 v[70:71], v[60:61], v[10:11] neg_lo:[0,1] neg_hi:[0,1]
	v_pk_fma_f32 v[48:49], v[128:129], v[54:55], v[4:5] op_sel:[0,0,1] op_sel_hi:[1,1,0]
	v_pk_fma_f32 v[4:5], v[128:129], v[54:55], v[4:5] op_sel:[0,0,1] op_sel_hi:[1,1,0] neg_lo:[0,0,1] neg_hi:[0,0,1]
	v_mov_b32_e32 v1, s3
	v_mov_b32_e32 v49, v5
	s_waitcnt lgkmcnt(0)
	v_pk_mul_f32 v[4:5], v[14:15], v[56:57]
	v_pk_add_f32 v[66:67], v[10:11], v[48:49] neg_lo:[0,1] neg_hi:[0,1]
	v_pk_fma_f32 v[54:55], v[126:127], v[56:57], v[4:5] op_sel:[0,0,1] op_sel_hi:[1,1,0]
	v_pk_fma_f32 v[4:5], v[126:127], v[56:57], v[4:5] op_sel:[0,0,1] op_sel_hi:[1,1,0] neg_lo:[0,0,1] neg_hi:[0,0,1]
	v_pk_mul_f32 v[68:69], v[66:67], s[2:3] op_sel_hi:[1,0]
	v_mov_b32_e32 v55, v5
	v_pk_add_f32 v[4:5], v[6:7], v[60:61]
	v_pk_add_f32 v[56:57], v[60:61], v[54:55] neg_lo:[0,1] neg_hi:[0,1]
	v_pk_add_f32 v[4:5], v[4:5], v[10:11]
	v_pk_mul_f32 v[64:65], v[56:57], s[0:1] op_sel_hi:[1,0]
	v_pk_add_f32 v[4:5], v[4:5], v[48:49]
	v_pk_add_f32 v[72:73], v[54:55], v[48:49] neg_lo:[0,1] neg_hi:[0,1]
	v_pk_add_f32 v[62:63], v[4:5], v[54:55]
	v_pk_add_f32 v[4:5], v[10:11], v[48:49]
	;; [unrolled: 1-line block ×3, first 2 shown]
	v_pk_fma_f32 v[4:5], v[4:5], 0.5, v[6:7] op_sel_hi:[1,0,1] neg_lo:[1,0,0] neg_hi:[1,0,0]
	s_nop 0
	v_pk_add_f32 v[72:73], v[4:5], v[64:65] op_sel:[0,1] op_sel_hi:[1,0] neg_lo:[0,1] neg_hi:[0,1]
	v_pk_add_f32 v[4:5], v[4:5], v[64:65] op_sel:[0,1] op_sel_hi:[1,0]
	s_nop 0
	v_pk_add_f32 v[64:65], v[4:5], v[68:69] op_sel:[0,1] op_sel_hi:[1,0]
	v_pk_add_f32 v[68:69], v[72:73], v[68:69] op_sel:[0,1] op_sel_hi:[1,0] neg_lo:[0,1] neg_hi:[0,1]
	v_mov_b32_e32 v5, v65
	v_mov_b32_e32 v4, v68
	v_pk_fma_f32 v[72:73], v[70:71], s[8:9], v[4:5] op_sel_hi:[1,0,1]
	v_pk_add_f32 v[4:5], v[60:61], v[54:55]
	v_mov_b32_e32 v65, v69
	v_pk_fma_f32 v[4:5], v[4:5], 0.5, v[6:7] op_sel_hi:[1,0,1] neg_lo:[1,0,0] neg_hi:[1,0,0]
	v_pk_add_f32 v[6:7], v[10:11], v[60:61] neg_lo:[0,1] neg_hi:[0,1]
	v_pk_add_f32 v[10:11], v[48:49], v[54:55] neg_lo:[0,1] neg_hi:[0,1]
	v_pk_mul_f32 v[48:49], v[56:57], s[2:3] op_sel_hi:[1,0]
	v_pk_add_f32 v[6:7], v[6:7], v[10:11]
	v_pk_mul_f32 v[10:11], v[66:67], s[0:1] op_sel_hi:[1,0]
	v_pk_fma_f32 v[60:61], v[70:71], s[8:9], v[64:65] op_sel_hi:[1,0,1]
	v_pk_add_f32 v[54:55], v[4:5], v[10:11] op_sel:[0,1] op_sel_hi:[1,0]
	v_pk_add_f32 v[4:5], v[4:5], v[10:11] op_sel:[0,1] op_sel_hi:[1,0] neg_lo:[0,1] neg_hi:[0,1]
	v_pk_add_f32 v[10:11], v[54:55], v[48:49] op_sel:[0,1] op_sel_hi:[1,0] neg_lo:[0,1] neg_hi:[0,1]
	v_pk_add_f32 v[4:5], v[4:5], v[48:49] op_sel:[0,1] op_sel_hi:[1,0]
	v_mov_b32_e32 v48, v10
	v_mov_b32_e32 v49, v5
	;; [unrolled: 1-line block ×3, first 2 shown]
	v_pk_fma_f32 v[48:49], v[6:7], s[8:9], v[48:49] op_sel_hi:[1,0,1]
	v_pk_fma_f32 v[10:11], v[6:7], s[8:9], v[4:5] op_sel_hi:[1,0,1]
	ds_read2_b64 v[4:7], v93 offset0:44 offset1:55
	ds_read2_b64 v[54:57], v93 offset0:110 offset1:121
	ds_read_b64 v[64:65], v93 offset:1232
	s_waitcnt lgkmcnt(0)
	; wave barrier
	s_waitcnt lgkmcnt(0)
	ds_write2_b64 v93, v[62:63], v[72:73] offset1:11
	ds_write2_b64 v93, v[48:49], v[10:11] offset0:22 offset1:33
	v_pk_mul_f32 v[16:17], v[16:17], v[4:5]
	v_pk_mul_f32 v[24:25], v[24:25], v[6:7]
	v_pk_fma_f32 v[70:71], v[132:133], v[4:5], v[16:17] op_sel:[0,0,1] op_sel_hi:[1,1,0]
	v_pk_fma_f32 v[4:5], v[132:133], v[4:5], v[16:17] op_sel:[0,0,1] op_sel_hi:[1,1,0] neg_lo:[0,0,1] neg_hi:[0,0,1]
	v_pk_fma_f32 v[66:67], v[140:141], v[6:7], v[24:25] op_sel:[0,0,1] op_sel_hi:[1,1,0]
	v_mov_b32_e32 v71, v5
	v_pk_mul_f32 v[4:5], v[18:19], v[50:51]
	v_pk_add_f32 v[10:11], v[8:9], v[70:71]
	v_pk_fma_f32 v[16:17], v[130:131], v[50:51], v[4:5] op_sel:[0,0,1] op_sel_hi:[1,1,0]
	v_pk_fma_f32 v[4:5], v[130:131], v[50:51], v[4:5] op_sel:[0,0,1] op_sel_hi:[1,1,0] neg_lo:[0,0,1] neg_hi:[0,0,1]
	v_pk_fma_f32 v[6:7], v[140:141], v[6:7], v[24:25] op_sel:[0,0,1] op_sel_hi:[1,1,0] neg_lo:[0,0,1] neg_hi:[0,0,1]
	v_mov_b32_e32 v17, v5
	v_pk_mul_f32 v[4:5], v[12:13], v[54:55]
	v_pk_add_f32 v[10:11], v[10:11], v[16:17]
	v_pk_fma_f32 v[12:13], v[128:129], v[54:55], v[4:5] op_sel:[0,0,1] op_sel_hi:[1,1,0]
	v_pk_fma_f32 v[4:5], v[128:129], v[54:55], v[4:5] op_sel:[0,0,1] op_sel_hi:[1,1,0] neg_lo:[0,0,1] neg_hi:[0,0,1]
	v_mov_b32_e32 v67, v7
	v_mov_b32_e32 v13, v5
	v_pk_mul_f32 v[4:5], v[14:15], v[58:59]
	v_pk_mul_f32 v[6:7], v[26:27], v[52:53]
	v_pk_fma_f32 v[14:15], v[126:127], v[58:59], v[4:5] op_sel:[0,0,1] op_sel_hi:[1,1,0]
	v_pk_fma_f32 v[4:5], v[126:127], v[58:59], v[4:5] op_sel:[0,0,1] op_sel_hi:[1,1,0] neg_lo:[0,0,1] neg_hi:[0,0,1]
	v_pk_add_f32 v[10:11], v[10:11], v[12:13]
	v_mov_b32_e32 v15, v5
	v_pk_fma_f32 v[24:25], v[138:139], v[52:53], v[6:7] op_sel:[0,0,1] op_sel_hi:[1,1,0]
	v_pk_fma_f32 v[6:7], v[138:139], v[52:53], v[6:7] op_sel:[0,0,1] op_sel_hi:[1,1,0] neg_lo:[0,0,1] neg_hi:[0,0,1]
	v_pk_add_f32 v[10:11], v[10:11], v[14:15]
	v_mov_b32_e32 v25, v7
	v_pk_mul_f32 v[6:7], v[20:21], v[56:57]
	v_pk_add_f32 v[4:5], v[16:17], v[12:13]
	ds_write2_b64 v93, v[60:61], v[10:11] offset0:44 offset1:55
	v_pk_add_f32 v[10:11], v[70:71], v[14:15]
	v_pk_fma_f32 v[20:21], v[136:137], v[56:57], v[6:7] op_sel:[0,0,1] op_sel_hi:[1,1,0]
	v_pk_fma_f32 v[6:7], v[136:137], v[56:57], v[6:7] op_sel:[0,0,1] op_sel_hi:[1,1,0] neg_lo:[0,0,1] neg_hi:[0,0,1]
	v_pk_fma_f32 v[4:5], v[4:5], 0.5, v[8:9] op_sel_hi:[1,0,1] neg_lo:[1,0,0] neg_hi:[1,0,0]
	v_pk_add_f32 v[18:19], v[70:71], v[14:15] neg_lo:[0,1] neg_hi:[0,1]
	v_pk_add_f32 v[50:51], v[16:17], v[12:13] neg_lo:[0,1] neg_hi:[0,1]
	;; [unrolled: 1-line block ×4, first 2 shown]
	v_pk_fma_f32 v[8:9], v[10:11], 0.5, v[8:9] op_sel_hi:[1,0,1] neg_lo:[1,0,0] neg_hi:[1,0,0]
	v_pk_add_f32 v[10:11], v[16:17], v[70:71] neg_lo:[0,1] neg_hi:[0,1]
	v_pk_add_f32 v[12:13], v[12:13], v[14:15] neg_lo:[0,1] neg_hi:[0,1]
	v_mov_b32_e32 v21, v7
	v_pk_mul_f32 v[6:7], v[22:23], v[64:65]
	v_pk_add_f32 v[54:55], v[54:55], v[58:59]
	v_pk_fma_f32 v[58:59], v[18:19], s[0:1], v[4:5] op_sel:[1,0,0] op_sel_hi:[0,0,1]
	v_pk_fma_f32 v[4:5], v[18:19], s[0:1], v[4:5] op_sel:[1,0,0] op_sel_hi:[0,0,1] neg_lo:[1,0,0] neg_hi:[1,0,0]
	v_pk_add_f32 v[10:11], v[10:11], v[12:13]
	v_pk_fma_f32 v[12:13], v[50:51], s[0:1], v[8:9] op_sel:[1,0,0] op_sel_hi:[0,0,1] neg_lo:[1,0,0] neg_hi:[1,0,0]
	v_pk_fma_f32 v[8:9], v[50:51], s[0:1], v[8:9] op_sel:[1,0,0] op_sel_hi:[0,0,1]
	v_pk_fma_f32 v[22:23], v[134:135], v[64:65], v[6:7] op_sel:[0,0,1] op_sel_hi:[1,1,0]
	v_pk_fma_f32 v[6:7], v[134:135], v[64:65], v[6:7] op_sel:[0,0,1] op_sel_hi:[1,1,0] neg_lo:[0,0,1] neg_hi:[0,0,1]
	v_pk_fma_f32 v[4:5], v[50:51], s[2:3], v[4:5] op_sel:[1,0,0] op_sel_hi:[0,0,1] neg_lo:[1,0,0] neg_hi:[1,0,0]
	v_pk_fma_f32 v[58:59], v[50:51], s[2:3], v[58:59] op_sel:[1,0,0] op_sel_hi:[0,0,1]
	v_pk_fma_f32 v[8:9], v[18:19], s[2:3], v[8:9] op_sel:[1,0,0] op_sel_hi:[0,0,1] neg_lo:[1,0,0] neg_hi:[1,0,0]
	v_pk_fma_f32 v[12:13], v[18:19], s[2:3], v[12:13] op_sel:[1,0,0] op_sel_hi:[0,0,1]
	v_mov_b32_e32 v23, v7
	v_pk_add_f32 v[6:7], v[24:25], v[20:21]
	v_mov_b32_e32 v75, v5
	v_mov_b32_e32 v5, v59
	;; [unrolled: 1-line block ×4, first 2 shown]
	v_pk_fma_f32 v[6:7], v[6:7], 0.5, v[2:3] op_sel_hi:[1,0,1] neg_lo:[1,0,0] neg_hi:[1,0,0]
	v_pk_add_f32 v[26:27], v[66:67], v[22:23] neg_lo:[0,1] neg_hi:[0,1]
	v_pk_add_f32 v[56:57], v[66:67], v[24:25] neg_lo:[0,1] neg_hi:[0,1]
	;; [unrolled: 1-line block ×3, first 2 shown]
	v_mov_b32_e32 v74, v58
	v_pk_fma_f32 v[4:5], v[54:55], s[8:9], v[4:5] op_sel_hi:[1,0,1]
	v_mov_b32_e32 v14, v12
	v_pk_fma_f32 v[8:9], v[10:11], s[8:9], v[8:9] op_sel_hi:[1,0,1]
	v_pk_add_f32 v[52:53], v[24:25], v[20:21] neg_lo:[0,1] neg_hi:[0,1]
	v_pk_add_f32 v[56:57], v[56:57], v[64:65]
	v_pk_fma_f32 v[64:65], v[26:27], s[0:1], v[6:7] op_sel:[1,0,0] op_sel_hi:[0,0,1]
	v_pk_fma_f32 v[6:7], v[26:27], s[0:1], v[6:7] op_sel:[1,0,0] op_sel_hi:[0,0,1] neg_lo:[1,0,0] neg_hi:[1,0,0]
	v_pk_fma_f32 v[74:75], v[54:55], s[8:9], v[74:75] op_sel_hi:[1,0,1]
	v_pk_fma_f32 v[14:15], v[10:11], s[8:9], v[14:15] op_sel_hi:[1,0,1]
	ds_write2_b64 v93, v[4:5], v[8:9] offset0:66 offset1:77
	ds_write2_b64 v93, v[14:15], v[74:75] offset0:88 offset1:99
	v_pk_add_f32 v[4:5], v[2:3], v[66:67]
	v_pk_fma_f32 v[6:7], v[52:53], s[2:3], v[6:7] op_sel:[1,0,0] op_sel_hi:[0,0,1] neg_lo:[1,0,0] neg_hi:[1,0,0]
	v_pk_fma_f32 v[64:65], v[52:53], s[2:3], v[64:65] op_sel:[1,0,0] op_sel_hi:[0,0,1]
	v_pk_add_f32 v[4:5], v[4:5], v[24:25]
	v_mov_b32_e32 v69, v7
	v_pk_add_f32 v[4:5], v[4:5], v[20:21]
	v_mov_b32_e32 v7, v65
	v_pk_add_f32 v[4:5], v[4:5], v[22:23]
	v_pk_fma_f32 v[6:7], v[56:57], s[8:9], v[6:7] op_sel_hi:[1,0,1]
	ds_write2_b64 v144, v[4:5], v[6:7] offset0:110 offset1:121
	v_pk_add_f32 v[4:5], v[66:67], v[22:23]
	v_pk_add_f32 v[6:7], v[20:21], v[22:23] neg_lo:[0,1] neg_hi:[0,1]
	v_pk_fma_f32 v[2:3], v[4:5], 0.5, v[2:3] op_sel_hi:[1,0,1] neg_lo:[1,0,0] neg_hi:[1,0,0]
	v_pk_add_f32 v[4:5], v[24:25], v[66:67] neg_lo:[0,1] neg_hi:[0,1]
	v_mov_b32_e32 v68, v64
	v_pk_add_f32 v[4:5], v[4:5], v[6:7]
	v_pk_fma_f32 v[6:7], v[52:53], s[0:1], v[2:3] op_sel:[1,0,0] op_sel_hi:[0,0,1] neg_lo:[1,0,0] neg_hi:[1,0,0]
	v_pk_fma_f32 v[2:3], v[52:53], s[0:1], v[2:3] op_sel:[1,0,0] op_sel_hi:[0,0,1]
	v_pk_fma_f32 v[2:3], v[26:27], s[2:3], v[2:3] op_sel:[1,0,0] op_sel_hi:[0,0,1] neg_lo:[1,0,0] neg_hi:[1,0,0]
	v_pk_fma_f32 v[6:7], v[26:27], s[2:3], v[6:7] op_sel:[1,0,0] op_sel_hi:[0,0,1]
	v_mov_b32_e32 v8, v6
	v_mov_b32_e32 v9, v3
	;; [unrolled: 1-line block ×3, first 2 shown]
	v_pk_fma_f32 v[8:9], v[4:5], s[8:9], v[8:9] op_sel_hi:[1,0,1]
	v_pk_fma_f32 v[2:3], v[4:5], s[8:9], v[2:3] op_sel_hi:[1,0,1]
	;; [unrolled: 1-line block ×3, first 2 shown]
	ds_write2_b64 v144, v[2:3], v[8:9] offset0:132 offset1:143
	ds_write_b64 v144, v[68:69] offset:1232
	s_waitcnt lgkmcnt(0)
	; wave barrier
	s_waitcnt lgkmcnt(0)
	ds_read2_b64 v[2:5], v93 offset0:44 offset1:55
	ds_read2_b64 v[6:9], v93 offset1:11
	ds_read2_b64 v[10:13], v93 offset0:110 offset1:121
	v_mad_u64_u32 v[22:23], s[0:1], s6, v92, 0
	s_mov_b32 s0, 0x3f5db3d7
	s_waitcnt lgkmcnt(2)
	v_pk_mul_f32 v[14:15], v[44:45], v[4:5]
	s_nop 0
	v_pk_fma_f32 v[24:25], v[124:125], v[4:5], v[14:15] op_sel:[0,0,1] op_sel_hi:[1,1,0]
	v_pk_fma_f32 v[4:5], v[124:125], v[4:5], v[14:15] op_sel:[0,0,1] op_sel_hi:[1,1,0] neg_lo:[0,0,1] neg_hi:[0,0,1]
	ds_read2_b64 v[14:17], v93 offset0:66 offset1:77
	v_mov_b32_e32 v25, v5
	s_waitcnt lgkmcnt(1)
	v_pk_mul_f32 v[4:5], v[46:47], v[10:11]
	s_nop 0
	v_pk_fma_f32 v[26:27], v[122:123], v[10:11], v[4:5] op_sel:[0,0,1] op_sel_hi:[1,1,0]
	v_pk_fma_f32 v[4:5], v[122:123], v[10:11], v[4:5] op_sel:[0,0,1] op_sel_hi:[1,1,0] neg_lo:[0,0,1] neg_hi:[0,0,1]
	s_waitcnt lgkmcnt(0)
	v_pk_mul_f32 v[10:11], v[40:41], v[14:15]
	v_mov_b32_e32 v27, v5
	v_pk_fma_f32 v[40:41], v[120:121], v[14:15], v[10:11] op_sel:[0,0,1] op_sel_hi:[1,1,0]
	v_pk_fma_f32 v[10:11], v[120:121], v[14:15], v[10:11] op_sel:[0,0,1] op_sel_hi:[1,1,0] neg_lo:[0,0,1] neg_hi:[0,0,1]
	v_pk_mul_f32 v[14:15], v[36:37], v[16:17]
	v_mov_b32_e32 v41, v11
	v_pk_mul_f32 v[10:11], v[42:43], v[12:13]
	v_pk_fma_f32 v[36:37], v[116:117], v[16:17], v[14:15] op_sel:[0,0,1] op_sel_hi:[1,1,0]
	v_pk_fma_f32 v[42:43], v[118:119], v[12:13], v[10:11] op_sel:[0,0,1] op_sel_hi:[1,1,0]
	v_pk_fma_f32 v[10:11], v[118:119], v[12:13], v[10:11] op_sel:[0,0,1] op_sel_hi:[1,1,0] neg_lo:[0,0,1] neg_hi:[0,0,1]
	v_pk_fma_f32 v[14:15], v[116:117], v[16:17], v[14:15] op_sel:[0,0,1] op_sel_hi:[1,1,0] neg_lo:[0,0,1] neg_hi:[0,0,1]
	v_mov_b32_e32 v43, v11
	v_pk_add_f32 v[10:11], v[8:9], v[40:41]
	v_mov_b32_e32 v37, v15
	v_pk_add_f32 v[44:45], v[10:11], v[42:43]
	ds_read2_b64 v[10:13], v93 offset0:22 offset1:33
	ds_read2_b64 v[18:21], v93 offset0:132 offset1:143
	v_pk_add_f32 v[4:5], v[6:7], v[24:25]
	s_waitcnt lgkmcnt(0)
	v_pk_mul_f32 v[14:15], v[38:39], v[18:19]
	s_nop 0
	v_pk_fma_f32 v[38:39], v[114:115], v[18:19], v[14:15] op_sel:[0,0,1] op_sel_hi:[1,1,0]
	v_pk_fma_f32 v[18:19], v[114:115], v[18:19], v[14:15] op_sel:[0,0,1] op_sel_hi:[1,1,0] neg_lo:[0,0,1] neg_hi:[0,0,1]
	ds_read2_b64 v[14:17], v93 offset0:88 offset1:99
	v_pk_add_f32 v[4:5], v[4:5], v[26:27]
	ds_write_b64 v93, v[4:5]
	v_mov_b32_e32 v39, v19
	v_pk_add_f32 v[18:19], v[10:11], v[36:37]
	s_waitcnt lgkmcnt(1)
	v_pk_mul_f32 v[4:5], v[32:33], v[14:15]
	v_pk_mul_f32 v[28:29], v[28:29], v[16:17]
	v_pk_fma_f32 v[32:33], v[112:113], v[14:15], v[4:5] op_sel:[0,0,1] op_sel_hi:[1,1,0]
	v_pk_fma_f32 v[4:5], v[112:113], v[14:15], v[4:5] op_sel:[0,0,1] op_sel_hi:[1,1,0] neg_lo:[0,0,1] neg_hi:[0,0,1]
	v_pk_add_f32 v[18:19], v[18:19], v[38:39]
	v_mov_b32_e32 v33, v5
	v_pk_mul_f32 v[4:5], v[34:35], v[20:21]
	v_pk_fma_f32 v[34:35], v[108:109], v[16:17], v[28:29] op_sel:[0,0,1] op_sel_hi:[1,1,0]
	v_pk_fma_f32 v[14:15], v[110:111], v[20:21], v[4:5] op_sel:[0,0,1] op_sel_hi:[1,1,0]
	v_pk_fma_f32 v[4:5], v[110:111], v[20:21], v[4:5] op_sel:[0,0,1] op_sel_hi:[1,1,0] neg_lo:[0,0,1] neg_hi:[0,0,1]
	ds_read_b64 v[20:21], v93 offset:1232
	v_pk_fma_f32 v[16:17], v[108:109], v[16:17], v[28:29] op_sel:[0,0,1] op_sel_hi:[1,1,0] neg_lo:[0,0,1] neg_hi:[0,0,1]
	v_mov_b32_e32 v15, v5
	v_mov_b32_e32 v35, v17
	v_pk_add_f32 v[4:5], v[12:13], v[32:33]
	s_waitcnt lgkmcnt(0)
	v_pk_mul_f32 v[16:17], v[30:31], v[20:21]
	v_pk_add_f32 v[4:5], v[4:5], v[14:15]
	v_pk_fma_f32 v[28:29], v[106:107], v[20:21], v[16:17] op_sel:[0,0,1] op_sel_hi:[1,1,0]
	v_pk_fma_f32 v[16:17], v[106:107], v[20:21], v[16:17] op_sel:[0,0,1] op_sel_hi:[1,1,0] neg_lo:[0,0,1] neg_hi:[0,0,1]
	v_pk_add_f32 v[20:21], v[24:25], v[26:27]
	v_mov_b32_e32 v29, v17
	v_pk_fma_f32 v[6:7], v[20:21], 0.5, v[6:7] op_sel_hi:[1,0,1] neg_lo:[1,0,0] neg_hi:[1,0,0]
	v_pk_add_f32 v[20:21], v[24:25], v[26:27] neg_lo:[0,1] neg_hi:[0,1]
	v_pk_add_f32 v[16:17], v[2:3], v[34:35]
	v_pk_mul_f32 v[20:21], v[20:21], s[0:1] op_sel_hi:[1,0]
	v_pk_add_f32 v[16:17], v[16:17], v[28:29]
	v_pk_add_f32 v[24:25], v[6:7], v[20:21] op_sel:[0,1] op_sel_hi:[1,0] neg_lo:[0,1] neg_hi:[0,1]
	v_pk_add_f32 v[6:7], v[6:7], v[20:21] op_sel:[0,1] op_sel_hi:[1,0]
	v_mov_b32_e32 v20, v24
	v_mov_b32_e32 v21, v7
	;; [unrolled: 1-line block ×3, first 2 shown]
	v_pk_add_f32 v[24:25], v[40:41], v[42:43]
	s_nop 0
	v_pk_fma_f32 v[8:9], v[24:25], 0.5, v[8:9] op_sel_hi:[1,0,1] neg_lo:[1,0,0] neg_hi:[1,0,0]
	v_pk_add_f32 v[24:25], v[40:41], v[42:43] neg_lo:[0,1] neg_hi:[0,1]
	s_nop 0
	v_pk_mul_f32 v[24:25], v[24:25], s[0:1] op_sel_hi:[1,0]
	s_nop 0
	v_pk_add_f32 v[26:27], v[8:9], v[24:25] op_sel:[0,1] op_sel_hi:[1,0] neg_lo:[0,1] neg_hi:[0,1]
	v_pk_add_f32 v[8:9], v[8:9], v[24:25] op_sel:[0,1] op_sel_hi:[1,0]
	v_mov_b32_e32 v24, v26
	v_mov_b32_e32 v25, v9
	;; [unrolled: 1-line block ×3, first 2 shown]
	ds_write2_b64 v77, v[20:21], v[24:25] offset0:55 offset1:66
	ds_write2_b64 v77, v[6:7], v[8:9] offset0:110 offset1:121
	;; [unrolled: 1-line block ×3, first 2 shown]
	v_pk_add_f32 v[6:7], v[36:37], v[38:39]
	v_pk_add_f32 v[8:9], v[36:37], v[38:39] neg_lo:[0,1] neg_hi:[0,1]
	v_pk_fma_f32 v[6:7], v[6:7], 0.5, v[10:11] op_sel_hi:[1,0,1] neg_lo:[1,0,0] neg_hi:[1,0,0]
	v_pk_mul_f32 v[8:9], v[8:9], s[0:1] op_sel_hi:[1,0]
	s_nop 0
	v_pk_add_f32 v[10:11], v[6:7], v[8:9] op_sel:[0,1] op_sel_hi:[1,0] neg_lo:[0,1] neg_hi:[0,1]
	v_pk_add_f32 v[6:7], v[6:7], v[8:9] op_sel:[0,1] op_sel_hi:[1,0]
	v_mov_b32_e32 v8, v10
	v_mov_b32_e32 v9, v7
	;; [unrolled: 1-line block ×3, first 2 shown]
	ds_write2_b64 v148, v[8:9], v[6:7] offset0:55 offset1:110
	ds_write_b64 v77, v[4:5] offset:264
	v_pk_add_f32 v[4:5], v[32:33], v[14:15]
	v_pk_add_f32 v[6:7], v[32:33], v[14:15] neg_lo:[0,1] neg_hi:[0,1]
	v_pk_fma_f32 v[4:5], v[4:5], 0.5, v[12:13] op_sel_hi:[1,0,1] neg_lo:[1,0,0] neg_hi:[1,0,0]
	v_pk_mul_f32 v[6:7], v[6:7], s[0:1] op_sel_hi:[1,0]
	s_nop 0
	v_pk_add_f32 v[8:9], v[4:5], v[6:7] op_sel:[0,1] op_sel_hi:[1,0] neg_lo:[0,1] neg_hi:[0,1]
	v_pk_add_f32 v[4:5], v[4:5], v[6:7] op_sel:[0,1] op_sel_hi:[1,0]
	v_mov_b32_e32 v6, v8
	v_mov_b32_e32 v7, v5
	;; [unrolled: 1-line block ×3, first 2 shown]
	ds_write2_b64 v147, v[6:7], v[4:5] offset0:55 offset1:110
	ds_write_b64 v77, v[16:17] offset:352
	v_pk_add_f32 v[4:5], v[34:35], v[28:29]
	s_nop 0
	v_pk_fma_f32 v[2:3], v[4:5], 0.5, v[2:3] op_sel_hi:[1,0,1] neg_lo:[1,0,0] neg_hi:[1,0,0]
	v_pk_add_f32 v[4:5], v[34:35], v[28:29] neg_lo:[0,1] neg_hi:[0,1]
	s_nop 0
	v_pk_mul_f32 v[4:5], v[4:5], s[0:1] op_sel_hi:[1,0]
	s_nop 0
	v_pk_add_f32 v[6:7], v[2:3], v[4:5] op_sel:[0,1] op_sel_hi:[1,0] neg_lo:[0,1] neg_hi:[0,1]
	v_pk_add_f32 v[2:3], v[2:3], v[4:5] op_sel:[0,1] op_sel_hi:[1,0]
	v_mov_b32_e32 v4, v6
	v_mov_b32_e32 v5, v3
	;; [unrolled: 1-line block ×3, first 2 shown]
	ds_write2_b64 v146, v[4:5], v[2:3] offset0:55 offset1:110
	s_waitcnt lgkmcnt(0)
	; wave barrier
	s_waitcnt lgkmcnt(0)
	ds_read2_b64 v[2:5], v93 offset1:15
	v_mov_b32_e32 v6, v23
	v_mad_u64_u32 v[6:7], s[0:1], s7, v92, v[6:7]
	v_mov_b32_e32 v23, v6
	s_waitcnt lgkmcnt(0)
	v_mul_f32_e32 v6, v103, v3
	v_fmac_f32_e32 v6, v102, v2
	v_mul_f32_e32 v2, v103, v2
	s_mov_b32 s0, 0x8d3018d3
	v_fma_f32 v2, v102, v3, -v2
	v_cvt_f64_f32_e32 v[6:7], v6
	s_mov_b32 s1, 0x3f78d301
	v_cvt_f64_f32_e32 v[2:3], v2
	v_mul_f64 v[6:7], v[6:7], s[0:1]
	v_mul_f64 v[2:3], v[2:3], s[0:1]
	v_cvt_f32_f64_e32 v6, v[6:7]
	v_cvt_f32_f64_e32 v7, v[2:3]
	v_mad_u64_u32 v[2:3], s[2:3], s4, v76, 0
	v_mov_b32_e32 v8, v3
	v_mad_u64_u32 v[8:9], s[2:3], s5, v76, v[8:9]
	v_mov_b32_e32 v3, v8
	v_lshl_add_u64 v[0:1], v[22:23], 3, v[0:1]
	v_lshl_add_u64 v[8:9], v[2:3], 3, v[0:1]
	v_mul_f32_e32 v2, v101, v5
	v_fmac_f32_e32 v2, v100, v4
	v_cvt_f64_f32_e32 v[2:3], v2
	v_mul_f64 v[2:3], v[2:3], s[0:1]
	global_store_dwordx2 v[8:9], v[6:7], off
	v_cvt_f32_f64_e32 v6, v[2:3]
	v_mul_f32_e32 v2, v101, v4
	v_fma_f32 v2, v100, v5, -v2
	v_cvt_f64_f32_e32 v[2:3], v2
	v_mul_f64 v[2:3], v[2:3], s[0:1]
	v_cvt_f32_f64_e32 v7, v[2:3]
	ds_read2_b64 v[2:5], v93 offset0:30 offset1:45
	s_mul_i32 s2, s5, 15
	s_mul_hi_u32 s3, s4, 15
	s_add_i32 s3, s3, s2
	s_mul_i32 s2, s4, 15
	s_lshl_b64 s[2:3], s[2:3], 3
	v_lshl_add_u64 v[8:9], v[8:9], 0, s[2:3]
	global_store_dwordx2 v[8:9], v[6:7], off
	s_waitcnt lgkmcnt(0)
	v_mul_f32_e32 v6, v99, v3
	v_fmac_f32_e32 v6, v98, v2
	v_mul_f32_e32 v2, v99, v2
	v_fma_f32 v2, v98, v3, -v2
	v_cvt_f64_f32_e32 v[6:7], v6
	v_cvt_f64_f32_e32 v[2:3], v2
	v_mul_f64 v[6:7], v[6:7], s[0:1]
	v_mul_f64 v[2:3], v[2:3], s[0:1]
	v_cvt_f32_f64_e32 v6, v[6:7]
	v_cvt_f32_f64_e32 v7, v[2:3]
	v_mul_f32_e32 v2, v97, v5
	v_fmac_f32_e32 v2, v96, v4
	v_cvt_f64_f32_e32 v[2:3], v2
	v_lshl_add_u64 v[8:9], v[8:9], 0, s[2:3]
	v_mul_f64 v[2:3], v[2:3], s[0:1]
	global_store_dwordx2 v[8:9], v[6:7], off
	v_cvt_f32_f64_e32 v6, v[2:3]
	v_mul_f32_e32 v2, v97, v4
	v_fma_f32 v2, v96, v5, -v2
	v_cvt_f64_f32_e32 v[10:11], v2
	ds_read2_b64 v[2:5], v93 offset0:60 offset1:75
	v_mul_f64 v[10:11], v[10:11], s[0:1]
	v_cvt_f32_f64_e32 v7, v[10:11]
	v_lshl_add_u64 v[8:9], v[8:9], 0, s[2:3]
	global_store_dwordx2 v[8:9], v[6:7], off
	s_waitcnt lgkmcnt(0)
	v_mul_f32_e32 v6, v95, v3
	v_fmac_f32_e32 v6, v94, v2
	v_mul_f32_e32 v2, v95, v2
	v_fma_f32 v2, v94, v3, -v2
	v_cvt_f64_f32_e32 v[6:7], v6
	v_cvt_f64_f32_e32 v[2:3], v2
	v_mul_f64 v[6:7], v[6:7], s[0:1]
	v_mul_f64 v[2:3], v[2:3], s[0:1]
	v_cvt_f32_f64_e32 v6, v[6:7]
	v_cvt_f32_f64_e32 v7, v[2:3]
	v_mul_f32_e32 v2, v91, v5
	v_fmac_f32_e32 v2, v90, v4
	v_cvt_f64_f32_e32 v[2:3], v2
	v_lshl_add_u64 v[8:9], v[8:9], 0, s[2:3]
	v_mul_f64 v[2:3], v[2:3], s[0:1]
	global_store_dwordx2 v[8:9], v[6:7], off
	v_cvt_f32_f64_e32 v6, v[2:3]
	v_mul_f32_e32 v2, v91, v4
	v_fma_f32 v2, v90, v5, -v2
	v_cvt_f64_f32_e32 v[10:11], v2
	ds_read2_b64 v[2:5], v93 offset0:90 offset1:105
	v_mul_f64 v[10:11], v[10:11], s[0:1]
	v_cvt_f32_f64_e32 v7, v[10:11]
	;; [unrolled: 26-line block ×3, first 2 shown]
	v_lshl_add_u64 v[8:9], v[8:9], 0, s[2:3]
	global_store_dwordx2 v[8:9], v[6:7], off
	s_waitcnt lgkmcnt(0)
	v_mul_f32_e32 v6, v85, v3
	v_fmac_f32_e32 v6, v84, v2
	v_mul_f32_e32 v2, v85, v2
	v_fma_f32 v2, v84, v3, -v2
	v_cvt_f64_f32_e32 v[6:7], v6
	v_cvt_f64_f32_e32 v[2:3], v2
	v_mul_f64 v[6:7], v[6:7], s[0:1]
	v_mul_f64 v[2:3], v[2:3], s[0:1]
	v_cvt_f32_f64_e32 v6, v[6:7]
	v_cvt_f32_f64_e32 v7, v[2:3]
	v_lshl_add_u64 v[2:3], v[8:9], 0, s[2:3]
	global_store_dwordx2 v[2:3], v[6:7], off
	v_mul_f32_e32 v6, v83, v5
	ds_read_b64 v[8:9], v93 offset:1200
	v_fmac_f32_e32 v6, v82, v4
	v_mul_f32_e32 v4, v83, v4
	v_fma_f32 v4, v82, v5, -v4
	v_cvt_f64_f32_e32 v[6:7], v6
	v_cvt_f64_f32_e32 v[4:5], v4
	v_mul_f64 v[6:7], v[6:7], s[0:1]
	v_mul_f64 v[4:5], v[4:5], s[0:1]
	v_cvt_f32_f64_e32 v6, v[6:7]
	v_cvt_f32_f64_e32 v7, v[4:5]
	s_waitcnt lgkmcnt(0)
	v_mul_f32_e32 v4, v81, v9
	v_fmac_f32_e32 v4, v80, v8
	v_cvt_f64_f32_e32 v[4:5], v4
	v_mul_f64 v[4:5], v[4:5], s[0:1]
	v_cvt_f32_f64_e32 v4, v[4:5]
	v_mul_f32_e32 v5, v81, v8
	v_lshl_add_u64 v[2:3], v[2:3], 0, s[2:3]
	v_fma_f32 v5, v80, v9, -v5
	global_store_dwordx2 v[2:3], v[6:7], off
	v_cvt_f64_f32_e32 v[6:7], v5
	v_mul_f64 v[6:7], v[6:7], s[0:1]
	v_cvt_f32_f64_e32 v5, v[6:7]
	v_lshl_add_u64 v[2:3], v[2:3], 0, s[2:3]
	global_store_dwordx2 v[2:3], v[4:5], off
	s_and_b64 exec, exec, vcc
	s_cbranch_execz .LBB0_15
; %bb.14:
	global_load_dwordx2 v[4:5], v[78:79], off offset:88
	ds_read_b64 v[6:7], v77 offset:88
	v_mov_b32_e32 v8, 0xfffffba8
	v_mad_u64_u32 v[8:9], s[6:7], s4, v8, v[2:3]
	s_mul_i32 s8, s5, 0xfffffba8
	s_sub_i32 s6, s8, s4
	v_add_u32_e32 v9, s6, v9
	v_mov_b32_e32 v14, 0xf0
	s_mul_i32 s8, s5, 0xf0
	s_waitcnt vmcnt(0) lgkmcnt(0)
	v_mul_f32_e32 v2, v7, v5
	v_mul_f32_e32 v3, v6, v5
	v_fmac_f32_e32 v2, v6, v4
	v_fma_f32 v4, v4, v7, -v3
	v_cvt_f64_f32_e32 v[2:3], v2
	v_cvt_f64_f32_e32 v[4:5], v4
	v_mul_f64 v[2:3], v[2:3], s[0:1]
	v_mul_f64 v[4:5], v[4:5], s[0:1]
	v_cvt_f32_f64_e32 v2, v[2:3]
	v_cvt_f32_f64_e32 v3, v[4:5]
	global_store_dwordx2 v[8:9], v[2:3], off
	global_load_dwordx2 v[6:7], v[78:79], off offset:208
	ds_read2_b64 v[2:5], v93 offset0:26 offset1:41
	v_lshl_add_u64 v[8:9], v[8:9], 0, s[2:3]
	s_waitcnt vmcnt(0) lgkmcnt(0)
	v_mul_f32_e32 v10, v3, v7
	v_mul_f32_e32 v7, v2, v7
	v_fmac_f32_e32 v10, v2, v6
	v_fma_f32 v6, v6, v3, -v7
	v_cvt_f64_f32_e32 v[2:3], v10
	v_cvt_f64_f32_e32 v[6:7], v6
	v_mul_f64 v[2:3], v[2:3], s[0:1]
	v_mul_f64 v[6:7], v[6:7], s[0:1]
	v_cvt_f32_f64_e32 v2, v[2:3]
	v_cvt_f32_f64_e32 v3, v[6:7]
	global_store_dwordx2 v[8:9], v[2:3], off
	global_load_dwordx2 v[2:3], v[78:79], off offset:328
	v_lshl_add_u64 v[6:7], v[8:9], 0, s[2:3]
	v_mad_u64_u32 v[10:11], s[6:7], s4, v158, 0
	v_mov_b32_e32 v12, v11
	v_mad_u64_u32 v[12:13], s[6:7], s5, v158, v[12:13]
	v_mov_b32_e32 v11, v12
	v_lshl_add_u64 v[10:11], v[10:11], 3, v[0:1]
	v_or_b32_e32 v13, 0x74, v76
	s_waitcnt vmcnt(0)
	v_mul_f32_e32 v8, v5, v3
	v_mul_f32_e32 v3, v4, v3
	v_fmac_f32_e32 v8, v4, v2
	v_fma_f32 v4, v2, v5, -v3
	v_cvt_f64_f32_e32 v[2:3], v8
	v_cvt_f64_f32_e32 v[4:5], v4
	v_mul_f64 v[2:3], v[2:3], s[0:1]
	v_mul_f64 v[4:5], v[4:5], s[0:1]
	v_cvt_f32_f64_e32 v2, v[2:3]
	v_cvt_f32_f64_e32 v3, v[4:5]
	global_store_dwordx2 v[6:7], v[2:3], off
	global_load_dwordx2 v[8:9], v[78:79], off offset:448
	ds_read2_b64 v[2:5], v93 offset0:56 offset1:71
	v_mad_u64_u32 v[6:7], s[6:7], s4, v14, v[6:7]
	v_add_u32_e32 v7, s8, v7
	s_waitcnt vmcnt(0) lgkmcnt(0)
	v_mul_f32_e32 v12, v3, v9
	v_mul_f32_e32 v9, v2, v9
	v_fmac_f32_e32 v12, v2, v8
	v_fma_f32 v8, v8, v3, -v9
	v_cvt_f64_f32_e32 v[2:3], v12
	v_cvt_f64_f32_e32 v[8:9], v8
	v_mul_f64 v[2:3], v[2:3], s[0:1]
	v_mul_f64 v[8:9], v[8:9], s[0:1]
	v_cvt_f32_f64_e32 v2, v[2:3]
	v_cvt_f32_f64_e32 v3, v[8:9]
	global_store_dwordx2 v[10:11], v[2:3], off
	global_load_dwordx2 v[2:3], v[78:79], off offset:568
	s_waitcnt vmcnt(0)
	v_mul_f32_e32 v8, v5, v3
	v_mul_f32_e32 v3, v4, v3
	v_fmac_f32_e32 v8, v4, v2
	v_fma_f32 v4, v2, v5, -v3
	v_cvt_f64_f32_e32 v[2:3], v8
	v_cvt_f64_f32_e32 v[4:5], v4
	v_mul_f64 v[2:3], v[2:3], s[0:1]
	v_mul_f64 v[4:5], v[4:5], s[0:1]
	v_cvt_f32_f64_e32 v2, v[2:3]
	v_cvt_f32_f64_e32 v3, v[4:5]
	global_store_dwordx2 v[6:7], v[2:3], off
	global_load_dwordx2 v[8:9], v[78:79], off offset:688
	ds_read2_b64 v[2:5], v93 offset0:86 offset1:101
	v_lshl_add_u64 v[6:7], v[6:7], 0, s[2:3]
	s_waitcnt vmcnt(0) lgkmcnt(0)
	v_mul_f32_e32 v10, v3, v9
	v_mul_f32_e32 v9, v2, v9
	v_fmac_f32_e32 v10, v2, v8
	v_fma_f32 v8, v8, v3, -v9
	v_cvt_f64_f32_e32 v[2:3], v10
	v_cvt_f64_f32_e32 v[8:9], v8
	v_mul_f64 v[2:3], v[2:3], s[0:1]
	v_mul_f64 v[8:9], v[8:9], s[0:1]
	v_cvt_f32_f64_e32 v2, v[2:3]
	v_cvt_f32_f64_e32 v3, v[8:9]
	global_store_dwordx2 v[6:7], v[2:3], off
	global_load_dwordx2 v[2:3], v[78:79], off offset:808
	v_lshl_add_u64 v[6:7], v[6:7], 0, s[2:3]
	v_mad_u64_u32 v[10:11], s[6:7], s4, v13, 0
	v_mov_b32_e32 v12, v11
	v_mad_u64_u32 v[12:13], s[6:7], s5, v13, v[12:13]
	v_mov_b32_e32 v11, v12
	v_lshl_add_u64 v[0:1], v[10:11], 3, v[0:1]
	s_waitcnt vmcnt(0)
	v_mul_f32_e32 v8, v5, v3
	v_mul_f32_e32 v3, v4, v3
	v_fmac_f32_e32 v8, v4, v2
	v_fma_f32 v4, v2, v5, -v3
	v_cvt_f64_f32_e32 v[2:3], v8
	v_cvt_f64_f32_e32 v[4:5], v4
	v_mul_f64 v[2:3], v[2:3], s[0:1]
	v_mul_f64 v[4:5], v[4:5], s[0:1]
	v_cvt_f32_f64_e32 v2, v[2:3]
	v_cvt_f32_f64_e32 v3, v[4:5]
	global_store_dwordx2 v[6:7], v[2:3], off
	global_load_dwordx2 v[8:9], v[78:79], off offset:928
	ds_read2_b64 v[2:5], v93 offset0:116 offset1:131
	v_mad_u64_u32 v[6:7], s[4:5], s4, v14, v[6:7]
	v_add_u32_e32 v7, s8, v7
	s_waitcnt vmcnt(0) lgkmcnt(0)
	v_mul_f32_e32 v10, v3, v9
	v_mul_f32_e32 v9, v2, v9
	v_fmac_f32_e32 v10, v2, v8
	v_fma_f32 v8, v8, v3, -v9
	v_cvt_f64_f32_e32 v[2:3], v10
	v_cvt_f64_f32_e32 v[8:9], v8
	v_mul_f64 v[2:3], v[2:3], s[0:1]
	v_mul_f64 v[8:9], v[8:9], s[0:1]
	v_cvt_f32_f64_e32 v2, v[2:3]
	v_cvt_f32_f64_e32 v3, v[8:9]
	global_store_dwordx2 v[0:1], v[2:3], off
	global_load_dwordx2 v[0:1], v[78:79], off offset:1048
	s_waitcnt vmcnt(0)
	v_mul_f32_e32 v2, v5, v1
	v_mul_f32_e32 v1, v4, v1
	v_fmac_f32_e32 v2, v4, v0
	v_fma_f32 v3, v0, v5, -v1
	v_cvt_f64_f32_e32 v[0:1], v2
	v_cvt_f64_f32_e32 v[2:3], v3
	v_mul_f64 v[0:1], v[0:1], s[0:1]
	v_mul_f64 v[2:3], v[2:3], s[0:1]
	v_cvt_f32_f64_e32 v0, v[0:1]
	v_cvt_f32_f64_e32 v1, v[2:3]
	global_store_dwordx2 v[6:7], v[0:1], off
	global_load_dwordx2 v[4:5], v[78:79], off offset:1168
	ds_read2_b64 v[0:3], v93 offset0:146 offset1:161
	v_lshl_add_u64 v[6:7], v[6:7], 0, s[2:3]
	s_waitcnt vmcnt(0) lgkmcnt(0)
	v_mul_f32_e32 v8, v1, v5
	v_mul_f32_e32 v5, v0, v5
	v_fmac_f32_e32 v8, v0, v4
	v_fma_f32 v4, v4, v1, -v5
	v_cvt_f64_f32_e32 v[0:1], v8
	v_cvt_f64_f32_e32 v[4:5], v4
	v_mul_f64 v[0:1], v[0:1], s[0:1]
	v_mul_f64 v[4:5], v[4:5], s[0:1]
	v_cvt_f32_f64_e32 v0, v[0:1]
	v_cvt_f32_f64_e32 v1, v[4:5]
	global_store_dwordx2 v[6:7], v[0:1], off
	global_load_dwordx2 v[0:1], v[78:79], off offset:1288
	s_waitcnt vmcnt(0)
	v_mul_f32_e32 v4, v3, v1
	v_mul_f32_e32 v1, v2, v1
	v_fmac_f32_e32 v4, v2, v0
	v_fma_f32 v2, v0, v3, -v1
	v_cvt_f64_f32_e32 v[0:1], v4
	v_cvt_f64_f32_e32 v[2:3], v2
	v_mul_f64 v[0:1], v[0:1], s[0:1]
	v_mul_f64 v[2:3], v[2:3], s[0:1]
	v_cvt_f32_f64_e32 v0, v[0:1]
	v_cvt_f32_f64_e32 v1, v[2:3]
	v_lshl_add_u64 v[2:3], v[6:7], 0, s[2:3]
	global_store_dwordx2 v[2:3], v[0:1], off
.LBB0_15:
	s_endpgm
	.section	.rodata,"a",@progbits
	.p2align	6, 0x0
	.amdhsa_kernel bluestein_single_back_len165_dim1_sp_op_CI_CI
		.amdhsa_group_segment_fixed_size 6600
		.amdhsa_private_segment_fixed_size 0
		.amdhsa_kernarg_size 104
		.amdhsa_user_sgpr_count 2
		.amdhsa_user_sgpr_dispatch_ptr 0
		.amdhsa_user_sgpr_queue_ptr 0
		.amdhsa_user_sgpr_kernarg_segment_ptr 1
		.amdhsa_user_sgpr_dispatch_id 0
		.amdhsa_user_sgpr_kernarg_preload_length 0
		.amdhsa_user_sgpr_kernarg_preload_offset 0
		.amdhsa_user_sgpr_private_segment_size 0
		.amdhsa_uses_dynamic_stack 0
		.amdhsa_enable_private_segment 0
		.amdhsa_system_sgpr_workgroup_id_x 1
		.amdhsa_system_sgpr_workgroup_id_y 0
		.amdhsa_system_sgpr_workgroup_id_z 0
		.amdhsa_system_sgpr_workgroup_info 0
		.amdhsa_system_vgpr_workitem_id 0
		.amdhsa_next_free_vgpr 244
		.amdhsa_next_free_sgpr 46
		.amdhsa_accum_offset 244
		.amdhsa_reserve_vcc 1
		.amdhsa_float_round_mode_32 0
		.amdhsa_float_round_mode_16_64 0
		.amdhsa_float_denorm_mode_32 3
		.amdhsa_float_denorm_mode_16_64 3
		.amdhsa_dx10_clamp 1
		.amdhsa_ieee_mode 1
		.amdhsa_fp16_overflow 0
		.amdhsa_tg_split 0
		.amdhsa_exception_fp_ieee_invalid_op 0
		.amdhsa_exception_fp_denorm_src 0
		.amdhsa_exception_fp_ieee_div_zero 0
		.amdhsa_exception_fp_ieee_overflow 0
		.amdhsa_exception_fp_ieee_underflow 0
		.amdhsa_exception_fp_ieee_inexact 0
		.amdhsa_exception_int_div_zero 0
	.end_amdhsa_kernel
	.text
.Lfunc_end0:
	.size	bluestein_single_back_len165_dim1_sp_op_CI_CI, .Lfunc_end0-bluestein_single_back_len165_dim1_sp_op_CI_CI
                                        ; -- End function
	.section	.AMDGPU.csdata,"",@progbits
; Kernel info:
; codeLenInByte = 16104
; NumSgprs: 52
; NumVgprs: 244
; NumAgprs: 0
; TotalNumVgprs: 244
; ScratchSize: 0
; MemoryBound: 0
; FloatMode: 240
; IeeeMode: 1
; LDSByteSize: 6600 bytes/workgroup (compile time only)
; SGPRBlocks: 6
; VGPRBlocks: 30
; NumSGPRsForWavesPerEU: 52
; NumVGPRsForWavesPerEU: 244
; AccumOffset: 244
; Occupancy: 2
; WaveLimiterHint : 1
; COMPUTE_PGM_RSRC2:SCRATCH_EN: 0
; COMPUTE_PGM_RSRC2:USER_SGPR: 2
; COMPUTE_PGM_RSRC2:TRAP_HANDLER: 0
; COMPUTE_PGM_RSRC2:TGID_X_EN: 1
; COMPUTE_PGM_RSRC2:TGID_Y_EN: 0
; COMPUTE_PGM_RSRC2:TGID_Z_EN: 0
; COMPUTE_PGM_RSRC2:TIDIG_COMP_CNT: 0
; COMPUTE_PGM_RSRC3_GFX90A:ACCUM_OFFSET: 60
; COMPUTE_PGM_RSRC3_GFX90A:TG_SPLIT: 0
	.text
	.p2alignl 6, 3212836864
	.fill 256, 4, 3212836864
	.type	__hip_cuid_4de726f3db596dd5,@object ; @__hip_cuid_4de726f3db596dd5
	.section	.bss,"aw",@nobits
	.globl	__hip_cuid_4de726f3db596dd5
__hip_cuid_4de726f3db596dd5:
	.byte	0                               ; 0x0
	.size	__hip_cuid_4de726f3db596dd5, 1

	.ident	"AMD clang version 19.0.0git (https://github.com/RadeonOpenCompute/llvm-project roc-6.4.0 25133 c7fe45cf4b819c5991fe208aaa96edf142730f1d)"
	.section	".note.GNU-stack","",@progbits
	.addrsig
	.addrsig_sym __hip_cuid_4de726f3db596dd5
	.amdgpu_metadata
---
amdhsa.kernels:
  - .agpr_count:     0
    .args:
      - .actual_access:  read_only
        .address_space:  global
        .offset:         0
        .size:           8
        .value_kind:     global_buffer
      - .actual_access:  read_only
        .address_space:  global
        .offset:         8
        .size:           8
        .value_kind:     global_buffer
      - .actual_access:  read_only
        .address_space:  global
        .offset:         16
        .size:           8
        .value_kind:     global_buffer
      - .actual_access:  read_only
        .address_space:  global
        .offset:         24
        .size:           8
        .value_kind:     global_buffer
      - .actual_access:  read_only
        .address_space:  global
        .offset:         32
        .size:           8
        .value_kind:     global_buffer
      - .offset:         40
        .size:           8
        .value_kind:     by_value
      - .address_space:  global
        .offset:         48
        .size:           8
        .value_kind:     global_buffer
      - .address_space:  global
        .offset:         56
        .size:           8
        .value_kind:     global_buffer
      - .address_space:  global
        .offset:         64
        .size:           8
        .value_kind:     global_buffer
      - .address_space:  global
        .offset:         72
        .size:           8
        .value_kind:     global_buffer
      - .offset:         80
        .size:           4
        .value_kind:     by_value
      - .address_space:  global
        .offset:         88
        .size:           8
        .value_kind:     global_buffer
      - .address_space:  global
        .offset:         96
        .size:           8
        .value_kind:     global_buffer
    .group_segment_fixed_size: 6600
    .kernarg_segment_align: 8
    .kernarg_segment_size: 104
    .language:       OpenCL C
    .language_version:
      - 2
      - 0
    .max_flat_workgroup_size: 55
    .name:           bluestein_single_back_len165_dim1_sp_op_CI_CI
    .private_segment_fixed_size: 0
    .sgpr_count:     52
    .sgpr_spill_count: 0
    .symbol:         bluestein_single_back_len165_dim1_sp_op_CI_CI.kd
    .uniform_work_group_size: 1
    .uses_dynamic_stack: false
    .vgpr_count:     244
    .vgpr_spill_count: 0
    .wavefront_size: 64
amdhsa.target:   amdgcn-amd-amdhsa--gfx950
amdhsa.version:
  - 1
  - 2
...

	.end_amdgpu_metadata
